;; amdgpu-corpus repo=ROCm/aiter kind=harvested arch=n/a opt=n/a

/root/src/amdgpu-assembly/repos/ROCm__aiter/hsa/gfx950/pa/pa_fp16_pertokenInt8_gqa8_2tg_4w.co:	file format elf64-amdgpu

Disassembly of section .text:

0000000000002100 <_ZN5aiter32pa_fp16_pertokenInt8_gqa8_2tg_4wE>:
	s_and_b32 s1, s1, 0xffff                                   // 000000002100: 8601FF01 0000FFFF
	s_load_dwordx2 s[8:9], s[0:1], 0x0                         // 000000002108: C0060200 00000000
	s_load_dwordx2 s[12:13], s[0:1], 0x10                      // 000000002110: C0060300 00000010
	s_load_dwordx2 s[16:17], s[0:1], 0x20                      // 000000002118: C0060400 00000020
	s_load_dwordx2 s[20:21], s[0:1], 0x30                      // 000000002120: C0060500 00000030
	s_load_dwordx2 s[24:25], s[0:1], 0x40                      // 000000002128: C0060600 00000040
	s_load_dwordx2 s[28:29], s[0:1], 0x50                      // 000000002130: C0060700 00000050
	s_load_dwordx2 s[32:33], s[0:1], 0x60                      // 000000002138: C0060800 00000060
	s_load_dwordx2 s[36:37], s[0:1], 0x70                      // 000000002140: C0060900 00000070
	s_load_dword s64, s[0:1], 0x80                             // 000000002148: C0021000 00000080
	s_load_dword s65, s[0:1], 0x90                             // 000000002150: C0021040 00000090
	s_load_dword s66, s[0:1], 0xa0                             // 000000002158: C0021080 000000A0
	s_load_dword s74, s[0:1], 0xb0                             // 000000002160: C0021280 000000B0
	s_load_dword s68, s[0:1], 0xc0                             // 000000002168: C0021100 000000C0
	s_load_dword s69, s[0:1], 0xd0                             // 000000002170: C0021140 000000D0
	s_load_dword s77, s[0:1], 0xe0                             // 000000002178: C0021340 000000E0
	v_lshrrev_b32_e32 v1, 10, v0                               // 000000002180: 2002008A
	v_lshrrev_b32_e32 v2, 10, v1                               // 000000002184: 2004028A
	v_and_b32_e32 v2, 0x3ff, v2                                // 000000002188: 260404FF 000003FF
	v_and_b32_e32 v1, 0x3ff, v1                                // 000000002190: 260202FF 000003FF
	v_and_b32_e32 v0, 0x3ff, v0                                // 000000002198: 260000FF 000003FF
	v_lshrrev_b32_e32 v3, 6, v0                                // 0000000021A0: 20060086
	v_and_b32_e32 v0, 63, v0                                   // 0000000021A4: 260000BF
	s_mov_b32 s2, s2                                           // 0000000021A8: BE820002
	s_mov_b32 s3, s3                                           // 0000000021AC: BE830003
	s_mov_b32 s4, s4                                           // 0000000021B0: BE840004
	v_readfirstlane_b32 s7, v3                                 // 0000000021B4: 7E0E0503
	s_waitcnt lgkmcnt(0)                                       // 0000000021B8: BF8CC07F
	s_mul_i32 s67, 0x100, s77                                  // 0000000021BC: 92434DFF 00000100
	s_mul_i32 s76, 0x100, s77                                  // 0000000021C4: 924C4DFF 00000100
	s_mul_i32 s75, s66, s76                                    // 0000000021CC: 924B4C42
	s_mul_i32 s60, s3, 4                                       // 0000000021D0: 923C8403
	s_and_b32 s29, s29, 0xffff                                 // 0000000021D4: 861DFF1D 0000FFFF
	s_add_u32 s28, s60, s28                                    // 0000000021DC: 801C1C3C
	s_addc_u32 s29, 0, s29                                     // 0000000021E0: 821D1D80
	s_load_dword s72, s[28:29], 0x0                            // 0000000021E4: C002120E 00000000
	s_mov_b32 s10, s76                                         // 0000000021EC: BE8A004C
	s_mov_b32 s14, s67                                         // 0000000021F0: BE8E0043
	s_mul_i32 s60, 4, s65                                      // 0000000021F4: 923C4184
	s_mov_b32 s26, s60                                         // 0000000021F8: BE9A003C
	s_mov_b32 s34, 0x80000000                                  // 0000000021FC: BEA200FF 80000000
	s_mov_b32 s38, 0x80000000                                  // 000000002204: BEA600FF 80000000
	s_mov_b32 s18, 0x80000000                                  // 00000000220C: BE9200FF 80000000
	s_mov_b32 s22, 0x80000000                                  // 000000002214: BE9600FF 80000000
	s_mov_b32 s11, 0x20000                                     // 00000000221C: BE8B00FF 00020000
	s_mov_b32 s15, 0x20000                                     // 000000002224: BE8F00FF 00020000
	s_mov_b32 s19, 0x20000                                     // 00000000222C: BE9300FF 00020000
	s_mov_b32 s23, 0x20000                                     // 000000002234: BE9700FF 00020000
	s_mov_b32 s27, 0x20000                                     // 00000000223C: BE9B00FF 00020000
	s_mov_b32 s35, 0x20000                                     // 000000002244: BEA300FF 00020000
	s_mov_b32 s39, 0x20000                                     // 00000000224C: BEA700FF 00020000
	s_and_b32 s9, s9, 0xffff                                   // 000000002254: 8609FF09 0000FFFF
	s_and_b32 s13, s13, 0xffff                                 // 00000000225C: 860DFF0D 0000FFFF
	s_and_b32 s17, s17, 0xffff                                 // 000000002264: 8611FF11 0000FFFF
	s_and_b32 s21, s21, 0xffff                                 // 00000000226C: 8615FF15 0000FFFF
	s_and_b32 s25, s25, 0xffff                                 // 000000002274: 8619FF19 0000FFFF
	s_and_b32 s33, s33, 0xffff                                 // 00000000227C: 8621FF21 0000FFFF
	s_and_b32 s37, s37, 0xffff                                 // 000000002284: 8625FF25 0000FFFF
	s_or_b32 s9, s9, 0x40000                                   // 00000000228C: 8709FF09 00040000
	s_or_b32 s13, s13, 0x40000                                 // 000000002294: 870DFF0D 00040000
	s_or_b32 s17, s17, 0x40000                                 // 00000000229C: 8711FF11 00040000
	s_or_b32 s21, s21, 0x40000                                 // 0000000022A4: 8715FF15 00040000
	s_or_b32 s25, s25, 0x40000                                 // 0000000022AC: 8719FF19 00040000
	s_or_b32 s33, s33, 0x40000                                 // 0000000022B4: 8721FF21 00040000
	s_or_b32 s37, s37, 0x40000                                 // 0000000022BC: 8725FF25 00040000
	v_accvgpr_write_b32 a127, 0                                // 0000000022C4: D3D9407F 18000080
	v_mov_b32_e32 v127, 0                                      // 0000000022CC: 7EFE0280
	s_mul_i32 s60, s3, s65                                     // 0000000022D0: 923C4103
	s_mul_i32 s60, s60, 4                                      // 0000000022D4: 923C843C
	s_add_u32 s24, s60, s24                                    // 0000000022D8: 8018183C
	s_addc_u32 s25, 0, s25                                     // 0000000022DC: 82191980
	s_mov_b32 s56, 64                                          // 0000000022E0: BEB800C0
	s_waitcnt lgkmcnt(0)                                       // 0000000022E4: BF8CC07F
	s_add_u32 s73, s72, 15                                     // 0000000022E8: 80498F48
	s_lshr_b32 s73, s73, 4                                     // 0000000022EC: 8F498449
	s_mul_i32 s60, s73, 4                                      // 0000000022F0: 923C8449
	s_mov_b32 s26, s60                                         // 0000000022F4: BE9A003C
	v_and_b32_e32 v39, 3, v0                                   // 0000000022F8: 264E0083
	v_cmp_eq_u32_e64 s[60:61], 0, v39                          // 0000000022FC: D0CA003C 00024E80
	v_and_b32_e32 v38, 12, v0                                  // 000000002304: 264C008C
	v_add_u32_e32 v1, s7, v38                                  // 000000002308: 68024C07
	v_cndmask_b32_e64 v1, 0, v1, s[60:61]                      // 00000000230C: D1000001 00F20280
	v_and_b32_e32 v39, 3, v0                                   // 000000002314: 264E0083
	v_cmp_eq_u32_e64 s[60:61], 1, v39                          // 000000002318: D0CA003C 00024E81
	v_lshrrev_b32_e32 v38, 4, v0                               // 000000002320: 204C0084
	v_and_b32_e32 v39, 12, v0                                  // 000000002324: 264E008C
	v_add_u32_e32 v38, v39, v38                                // 000000002328: 684C4D27
	v_cndmask_b32_e64 v38, 0, v38, s[60:61]                    // 00000000232C: D1000026 00F24C80
	v_add_u32_e32 v1, v1, v38                                  // 000000002334: 68024D01
	v_lshlrev_b32_e32 v1, 2, v1                                // 000000002338: 24020282
	buffer_load_dword v16, v1, s[24:27], 0 offen               // 00000000233C: E0501000 80061001
	v_add_u32_e32 v1, s56, v1                                  // 000000002344: 68020238
	buffer_load_dword v17, v1, s[24:27], 0 offen               // 000000002348: E0501000 80061101
	s_cmp_le_u32 s73, 32                                       // 000000002350: BF0BA049
	s_cselect_b32 s56, 0, s56                                  // 000000002354: 85383880
	s_mul_i32 s60, s2, s67                                     // 000000002358: 923C4302
	s_mul_i32 s61, s3, s74                                     // 00000000235C: 923D4A03
	s_add_u32 s60, s60, s61                                    // 000000002360: 803C3D3C
	s_add_u32 s12, s60, s12                                    // 000000002364: 800C0C3C
	s_addc_u32 s13, 0, s13                                     // 000000002368: 820D0D80
	s_mul_i32 s60, s7, 0x108                                   // 00000000236C: 923CFF07 00000108
	s_add_u32 m0, 0, s60                                       // 000000002374: 807C3C80
	s_mul_i32 s60, s7, 0x100                                   // 000000002378: 923CFF07 00000100
	v_lshlrev_b32_e32 v38, 2, v0                               // 000000002380: 244C0082
	v_add_u32_e64 v38, v38, s60                                // 000000002384: D1340026 00007926
	buffer_load_dword v38, s[12:15], 0 offen lds               // 00000000238C: E0511000 80030026
	s_mul_i32 s60, 4, 0x108                                    // 000000002394: 923CFF84 00000108
	s_add_u32 m0, m0, s60                                      // 00000000239C: 807C3C7C
	v_add_u32_e32 v38, 0x400, v38                              // 0000000023A0: 684C4CFF 00000400
	buffer_load_dword v38, s[12:15], 0 offen lds               // 0000000023A8: E0511000 80030026
	s_mul_i32 s60, 4, 0x108                                    // 0000000023B0: 923CFF84 00000108
	s_add_u32 m0, m0, s60                                      // 0000000023B8: 807C3C7C
	v_add_u32_e32 v38, 0x400, v38                              // 0000000023BC: 684C4CFF 00000400
	s_mul_i32 s60, s7, 0x108                                   // 0000000023C4: 923CFF07 00000108
	v_lshlrev_b32_e32 v38, 2, v0                               // 0000000023CC: 244C0082
	v_add_u32_e64 v38, v38, s60                                // 0000000023D0: D1340026 00007926
	v_mov_b32_e32 v39, 0                                       // 0000000023D8: 7E4E0280
	ds_write_b32 v38, v39 offset:2112                          // 0000000023DC: D81A0840 00002726
	ds_write_b32 v38, v39 offset:3168                          // 0000000023E4: D81A0C60 00002726
	v_lshrrev_b32_e32 v38, 4, v0                               // 0000000023EC: 204C0084
	v_lshlrev_b32_e32 v38, 2, v38                              // 0000000023F0: 244C4C82
	v_and_b32_e32 v39, 3, v0                                   // 0000000023F4: 264E0083
	v_add_u32_e32 v38, v39, v38                                // 0000000023F8: 684C4D27
	v_lshlrev_b32_e32 v57, 2, v38                              // 0000000023FC: 24724C82
	v_mov_b32_e32 v58, v57                                     // 000000002400: 7E740339
	s_mul_i32 s60, s2, 64                                      // 000000002404: 923CC002
	s_add_u32 s32, s60, s32                                    // 000000002408: 8020203C
	s_addc_u32 s33, 0, s33                                     // 00000000240C: 82212180
	s_add_u32 s36, s60, s36                                    // 000000002410: 8024243C
	s_addc_u32 s37, 0, s37                                     // 000000002414: 82252580
	s_mul_i32 s60, s2, s76                                     // 000000002418: 923C4C02
	s_mul_i32 s61, s3, s75                                     // 00000000241C: 923D4B03
	s_add_u32 s60, s60, s61                                    // 000000002420: 803C3D3C
	s_add_u32 s8, s60, s8                                      // 000000002424: 8008083C
	s_addc_u32 s9, 0, s9                                       // 000000002428: 82090980
	s_mul_i32 s60, s7, 0x100                                   // 00000000242C: 923CFF07 00000100
	v_lshlrev_b32_e32 v8, 2, v0                                // 000000002434: 24100082
	v_add_u32_e64 v8, v8, s60                                  // 000000002438: D1340008 00007908
	s_mov_b32 s70, 0                                           // 000000002440: BEC60080
	s_and_b32 s71, s72, 0xffffff00                             // 000000002444: 8647FF48 FFFFFF00
	s_mov_b32 s42, 0xff00ff00                                  // 00000000244C: BEAA00FF FF00FF00
	s_mov_b32 s43, 0xff00ff00                                  // 000000002454: BEAB00FF FF00FF00
	s_mov_b32 s44, 0xf0f0f0f0                                  // 00000000245C: BEAC00FF F0F0F0F0
	s_mov_b32 s45, 0xf0f0f0f0                                  // 000000002464: BEAD00FF F0F0F0F0
	v_mul_i32_i24_e64 v61, 64, s66                             // 00000000246C: D106003D 000084C0
	v_mov_b32_e32 v51, s68                                     // 000000002474: 7E660244
	v_mov_b32_e32 v9, -1                                       // 000000002478: 7E1202C1
	s_mov_b32 s52, 0x7060302                                   // 00000000247C: BEB400FF 07060302
	s_mov_b32 s53, 0x400                                       // 000000002484: BEB500FF 00000400
	s_mov_b32 s54, 0x40100                                     // 00000000248C: BEB600FF 00040100
	s_mov_b32 s55, 0x4020100                                   // 000000002494: BEB700FF 04020100
	v_mov_b32_dpp v9, v9 row_shl:8 row_mask:0xf bank_mask:0xf bound_ctrl:1// 00000000249C: 7E1202FA FF090809
	s_mov_b32 s6, 0x3fb8aa3b                                   // 0000000024A4: BE8600FF 3FB8AA3B
	v_mov_b32_e32 v14, 0xff800000                              // 0000000024AC: 7E1C02FF FF800000
	v_mov_b32_e32 v52, 0xff800000                              // 0000000024B4: 7E6802FF FF800000
	v_mov_b32_e32 v49, 0                                       // 0000000024BC: 7E620280
	v_mov_b32_e32 v42, 0                                       // 0000000024C0: 7E540280
	v_mov_b32_e32 v47, 0                                       // 0000000024C4: 7E5E0280
	v_mov_b32_e32 v19, 0xffff0000                              // 0000000024C8: 7E2602FF FFFF0000
	v_mov_b32_e32 v20, 0x7fff0000                              // 0000000024D0: 7E2802FF 7FFF0000
	v_mov_b32_e32 v21, 0x7fff                                  // 0000000024D8: 7E2A02FF 00007FFF
	v_add_u32_e32 v1, s56, v1                                  // 0000000024E0: 68020238
	v_and_b32_e32 v10, 15, v0                                  // 0000000024E4: 2614008F
	v_lshlrev_b32_e32 v10, 2, v10                              // 0000000024E8: 24141482
	v_lshlrev_b32_e32 v11, 2, v0                               // 0000000024EC: 24160082
	s_mul_i32 s60, 0x100, s7                                   // 0000000024F0: 923C07FF 00000100
	v_add_u32_e32 v11, s60, v11                                // 0000000024F8: 6816163C
	v_lshrrev_b32_e32 v38, 4, v0                               // 0000000024FC: 204C0084
	v_lshlrev_b32_e32 v39, 6, v38                              // 000000002500: 244E4C86
	v_and_b32_e32 v38, 15, v0                                  // 000000002504: 264C008F
	v_lshlrev_b32_e32 v38, 1, v38                              // 000000002508: 244C4C81
	v_add_u32_e32 v39, v38, v39                                // 00000000250C: 684E4F26
	v_lshlrev_b32_e32 v12, 2, v39                              // 000000002510: 24184E82
	v_lshrrev_b32_e32 v38, 5, v0                               // 000000002514: 204C0085
	v_lshlrev_b32_e32 v39, 5, v38                              // 000000002518: 244E4C85
	v_and_b32_e32 v38, 31, v0                                  // 00000000251C: 264C009F
	v_lshrrev_b32_e32 v40, 4, v38                              // 000000002520: 20504C84
	v_add_u32_e32 v39, v40, v39                                // 000000002524: 684E4F28
	v_and_b32_e32 v38, 15, v0                                  // 000000002528: 264C008F
	v_lshlrev_b32_e32 v38, 1, v38                              // 00000000252C: 244C4C81
	v_add_u32_e32 v39, v38, v39                                // 000000002530: 684E4F26
	v_lshlrev_b32_e32 v38, 2, v39                              // 000000002534: 244C4E82
	s_mul_i32 s60, 0x100, s7                                   // 000000002538: 923C07FF 00000100
	v_add_u32_e64 v13, v38, s60                                // 000000002540: D134000D 00007926
	v_lshlrev_b32_e32 v6, 4, v0                                // 000000002548: 240C0084
	s_mul_i32 s60, s2, s69                                     // 00000000254C: 923C4502
	s_add_u32 s16, s60, s16                                    // 000000002550: 8010103C
	s_addc_u32 s17, 0, s17                                     // 000000002554: 82111180
	v_and_b32_e32 v38, 15, v0                                  // 000000002558: 264C008F
	v_lshlrev_b32_e32 v7, 4, v38                               // 00000000255C: 240E4C84
	s_mul_i32 s61, s2, s69                                     // 000000002560: 923D4502
	s_mul_i32 s60, s7, 0x100                                   // 000000002564: 923CFF07 00000100
	s_add_u32 s60, s60, s61                                    // 00000000256C: 803C3D3C
	s_add_u32 s20, s60, s20                                    // 000000002570: 8014143C
	s_addc_u32 s21, 0, s21                                     // 000000002574: 82151580
	s_waitcnt vmcnt(2)                                         // 000000002578: BF8C0F72
	v_mul_u32_u24_dpp v38, v16, v51 row_newbcast:0 row_mask:0xf bank_mask:0xf// 00000000257C: 104C66FA FF015010
	v_mul_u32_u24_dpp v39, v16, v51 row_newbcast:4 row_mask:0xf bank_mask:0xf// 000000002584: 104E66FA FF015410
	v_mul_u32_u24_dpp v40, v16, v51 row_newbcast:8 row_mask:0xf bank_mask:0xf// 00000000258C: 105066FA FF015810
	v_mul_u32_u24_dpp v41, v16, v51 row_newbcast:12 row_mask:0xf bank_mask:0xf// 000000002594: 105266FA FF015C10
	v_add_u32_e32 v22, v38, v6                                 // 00000000259C: 682C0D26
	v_add_u32_e32 v23, v39, v6                                 // 0000000025A0: 682E0D27
	v_add_u32_e32 v24, v40, v6                                 // 0000000025A4: 68300D28
	v_add_u32_e32 v25, v41, v6                                 // 0000000025A8: 68320D29
	v_mul_u32_u24_dpp v38, v16, v51 row_newbcast:1 row_mask:0xf bank_mask:0xf// 0000000025AC: 104C66FA FF015110
	v_mul_u32_u24_dpp v39, v16, v51 row_newbcast:5 row_mask:0xf bank_mask:0xf// 0000000025B4: 104E66FA FF015510
	v_mul_u32_u24_dpp v40, v16, v51 row_newbcast:9 row_mask:0xf bank_mask:0xf// 0000000025BC: 105066FA FF015910
	v_mul_u32_u24_dpp v41, v16, v51 row_newbcast:13 row_mask:0xf bank_mask:0xf// 0000000025C4: 105266FA FF015D10
	v_add_u32_e32 v30, v38, v7                                 // 0000000025CC: 683C0F26
	v_add_u32_e32 v31, v39, v7                                 // 0000000025D0: 683E0F27
	v_add_u32_e32 v32, v40, v7                                 // 0000000025D4: 68400F28
	v_add_u32_e32 v33, v41, v7                                 // 0000000025D8: 68420F29
	v_mul_u32_u24_dpp v38, v16, v61 quad_perm:[0,0,0,0] row_mask:0xf bank_mask:0xf// 0000000025DC: 104C7AFA FF000010
	v_add_u32_e32 v2, v38, v57                                 // 0000000025E4: 68047326
	v_mul_u32_u24_dpp v38, v16, v61 quad_perm:[0,0,0,0] row_mask:0xf bank_mask:0xf// 0000000025E8: 104C7AFA FF000010
	v_add_u32_e32 v53, v38, v58                                // 0000000025F0: 686A7526
	buffer_load_dword v44, v2, s[32:35], 0 offen               // 0000000025F4: E0501000 80082C02
	buffer_load_dwordx4 a[0:3], v22, s[16:19], 0 offen         // 0000000025FC: E05C1000 80840016
	buffer_load_dwordx4 a[4:7], v22, s[16:19], 0 offen offset:1024// 000000002604: E05C1400 80840416
	buffer_load_dwordx4 a[8:11], v23, s[16:19], 0 offen        // 00000000260C: E05C1000 80840817
	buffer_load_dwordx4 a[12:15], v23, s[16:19], 0 offen offset:1024// 000000002614: E05C1400 80840C17
	buffer_load_dwordx4 a[16:19], v24, s[16:19], 0 offen       // 00000000261C: E05C1000 80841018
	buffer_load_dwordx4 a[20:23], v24, s[16:19], 0 offen offset:1024// 000000002624: E05C1400 80841418
	buffer_load_dwordx4 a[24:27], v25, s[16:19], 0 offen       // 00000000262C: E05C1000 80841819
	buffer_load_dwordx4 a[28:31], v25, s[16:19], 0 offen offset:1024// 000000002634: E05C1400 80841C19
	buffer_load_dword v55, v53, s[36:39], 0 offen              // 00000000263C: E0501000 80093735
	buffer_load_dwordx4 a[64:67], v30, s[20:23], 0 offen       // 000000002644: E05C1000 8085401E
	buffer_load_dwordx4 a[68:71], v31, s[20:23], 0 offen       // 00000000264C: E05C1000 8085441F
	buffer_load_dwordx4 a[72:75], v32, s[20:23], 0 offen       // 000000002654: E05C1000 80854820
	buffer_load_dwordx4 a[76:79], v33, s[20:23], 0 offen       // 00000000265C: E05C1000 80854C21
	buffer_load_dwordx4 a[80:83], v30, s[20:23], 0 offen offset:1024// 000000002664: E05C1400 8085501E
	buffer_load_dwordx4 a[84:87], v31, s[20:23], 0 offen offset:1024// 00000000266C: E05C1400 8085541F
	buffer_load_dwordx4 a[88:91], v32, s[20:23], 0 offen offset:1024// 000000002674: E05C1400 80855820
	buffer_load_dwordx4 a[92:95], v33, s[20:23], 0 offen offset:1024// 00000000267C: E05C1400 80855C21
	v_lshrrev_b32_e32 v38, 4, v0                               // 000000002684: 204C0084
	v_lshlrev_b32_e32 v39, 1, v38                              // 000000002688: 244E4C81
	v_and_b32_e32 v38, 15, v0                                  // 00000000268C: 264C008F
	v_mul_i32_i24_e32 v38, 0x42, v38                           // 000000002690: 0C4C4CFF 00000042
	v_add_u32_e32 v39, v38, v39                                // 000000002698: 684E4F26
	v_lshlrev_b32_e32 v4, 2, v39                               // 00000000269C: 24084E82
	s_mul_i32 s60, s7, 32                                      // 0000000026A0: 923CA007
	v_add_u32_e32 v4, s60, v4                                  // 0000000026A4: 6808083C
	s_waitcnt vmcnt(16) lgkmcnt(0)                             // 0000000026A8: BF8C4070
	s_barrier                                                  // 0000000026AC: BF8A0000
	ds_read_b64 v[80:81], v4                                   // 0000000026B0: D8EC0000 50000004
	ds_read_b64 v[84:85], v4 offset:128                        // 0000000026B8: D8EC0080 54000004
	s_waitcnt lgkmcnt(0)                                       // 0000000026C0: BF8CC07F
	v_and_b32_e32 v38, 0xffff, v80                             // 0000000026C4: 264CA0FF 0000FFFF
	v_lshrrev_b32_e32 v39, 16, v80                             // 0000000026CC: 204EA090
	v_and_b32_e32 v40, 0xffff, v81                             // 0000000026D0: 2650A2FF 0000FFFF
	v_lshrrev_b32_e32 v41, 16, v81                             // 0000000026D8: 2052A290
	v_cvt_f32_f16_e32 v80, v38                                 // 0000000026DC: 7EA01726
	v_cvt_f32_f16_e32 v81, v39                                 // 0000000026E0: 7EA21727
	v_cvt_f32_f16_e32 v82, v40                                 // 0000000026E4: 7EA41728
	v_cvt_f32_f16_e32 v83, v41                                 // 0000000026E8: 7EA61729
	v_and_b32_e32 v38, 0xffff, v84                             // 0000000026EC: 264CA8FF 0000FFFF
	v_lshrrev_b32_e32 v39, 16, v84                             // 0000000026F4: 204EA890
	v_and_b32_e32 v40, 0xffff, v85                             // 0000000026F8: 2650AAFF 0000FFFF
	v_lshrrev_b32_e32 v41, 16, v85                             // 000000002700: 2052AA90
	v_cvt_f32_f16_e32 v84, v38                                 // 000000002704: 7EA81726
	v_cvt_f32_f16_e32 v85, v39                                 // 000000002708: 7EAA1727
	v_cvt_f32_f16_e32 v86, v40                                 // 00000000270C: 7EAC1728
	v_cvt_f32_f16_e32 v87, v41                                 // 000000002710: 7EAE1729
	v_mov_b32_e32 v48, 0x358637bd                              // 000000002714: 7E6002FF 358637BD
	v_max3_f32 v48, |v80|, |v81|, v48                          // 00000000271C: D1D30330 04C2A350
	v_max3_f32 v48, |v82|, |v83|, v48                          // 000000002724: D1D30330 04C2A752
	v_max3_f32 v48, |v84|, |v85|, v48                          // 00000000272C: D1D30330 04C2AB54
	v_max3_f32 v48, |v86|, |v87|, v48                          // 000000002734: D1D30330 04C2AF56
	ds_write_b32 v11, v48 offset:4224                          // 00000000273C: D81A1080 0000300B
	s_waitcnt lgkmcnt(0)                                       // 000000002744: BF8CC07F
	s_barrier                                                  // 000000002748: BF8A0000
	ds_read_b32 v64, v10 offset:4224                           // 00000000274C: D86C1080 4000000A
	ds_read_b32 v65, v10 offset:4288                           // 000000002754: D86C10C0 4100000A
	ds_read_b32 v66, v10 offset:4352                           // 00000000275C: D86C1100 4200000A
	ds_read_b32 v67, v10 offset:4416                           // 000000002764: D86C1140 4300000A
	ds_read_b32 v68, v10 offset:4480                           // 00000000276C: D86C1180 4400000A
	ds_read_b32 v69, v10 offset:4544                           // 000000002774: D86C11C0 4500000A
	ds_read_b32 v70, v10 offset:4608                           // 00000000277C: D86C1200 4600000A
	ds_read_b32 v71, v10 offset:4672                           // 000000002784: D86C1240 4700000A
	ds_read_b32 v72, v10 offset:4736                           // 00000000278C: D86C1280 4800000A
	ds_read_b32 v73, v10 offset:4800                           // 000000002794: D86C12C0 4900000A
	ds_read_b32 v74, v10 offset:4864                           // 00000000279C: D86C1300 4A00000A
	ds_read_b32 v75, v10 offset:4928                           // 0000000027A4: D86C1340 4B00000A
	ds_read_b32 v76, v10 offset:4992                           // 0000000027AC: D86C1380 4C00000A
	ds_read_b32 v77, v10 offset:5056                           // 0000000027B4: D86C13C0 4D00000A
	ds_read_b32 v78, v10 offset:5120                           // 0000000027BC: D86C1400 4E00000A
	ds_read_b32 v79, v10 offset:5184                           // 0000000027C4: D86C1440 4F00000A
	s_waitcnt lgkmcnt(0)                                       // 0000000027CC: BF8CC07F
	v_max3_f32 v48, |v64|, |v65|, v48                          // 0000000027D0: D1D30330 04C28340
	v_max3_f32 v48, |v66|, |v67|, v48                          // 0000000027D8: D1D30330 04C28742
	v_max3_f32 v48, |v68|, |v69|, v48                          // 0000000027E0: D1D30330 04C28B44
	v_max3_f32 v48, |v70|, |v71|, v48                          // 0000000027E8: D1D30330 04C28F46
	v_max3_f32 v48, |v72|, |v73|, v48                          // 0000000027F0: D1D30330 04C29348
	v_max3_f32 v48, |v74|, |v75|, v48                          // 0000000027F8: D1D30330 04C2974A
	v_max3_f32 v48, |v76|, |v77|, v48                          // 000000002800: D1D30330 04C29B4C
	v_max3_f32 v48, |v78|, |v79|, v48                          // 000000002808: D1D30330 04C29F4E
	v_rcp_f32_e32 v48, v48                                     // 000000002810: 7E604530
	s_nop 1                                                    // 000000002814: BF800001
	v_mul_f32_e32 v48, 0x42fe0000, v48                         // 000000002818: 0A6060FF 42FE0000
	v_mul_f32_e32 v80, v48, v80                                // 000000002820: 0AA0A130
	v_mul_f32_e32 v81, v48, v81                                // 000000002824: 0AA2A330
	v_mul_f32_e32 v82, v48, v82                                // 000000002828: 0AA4A530
	v_mul_f32_e32 v83, v48, v83                                // 00000000282C: 0AA6A730
	v_mul_f32_e32 v84, v48, v84                                // 000000002830: 0AA8A930
	v_mul_f32_e32 v85, v48, v85                                // 000000002834: 0AAAAB30
	v_mul_f32_e32 v86, v48, v86                                // 000000002838: 0AACAD30
	v_mul_f32_e32 v87, v48, v87                                // 00000000283C: 0AAEAF30
	v_cvt_i32_f32_e32 v80, v80                                 // 000000002840: 7EA01150
	v_cvt_i32_f32_e32 v81, v81                                 // 000000002844: 7EA21151
	v_cvt_i32_f32_e32 v82, v82                                 // 000000002848: 7EA41152
	v_cvt_i32_f32_e32 v83, v83                                 // 00000000284C: 7EA61153
	v_cvt_i32_f32_e32 v84, v84                                 // 000000002850: 7EA81154
	v_cvt_i32_f32_e32 v85, v85                                 // 000000002854: 7EAA1155
	v_cvt_i32_f32_e32 v86, v86                                 // 000000002858: 7EAC1156
	v_cvt_i32_f32_e32 v87, v87                                 // 00000000285C: 7EAE1157
	v_rcp_f32_e32 v46, v48                                     // 000000002860: 7E5C4530
	v_perm_b32 v80, v81, v80, s53                              // 000000002864: D1ED0050 00D6A151
	v_perm_b32 v80, v82, v80, s54                              // 00000000286C: D1ED0050 00DAA152
	v_perm_b32 v80, v83, v80, s55                              // 000000002874: D1ED0050 00DEA153
	v_perm_b32 v81, v85, v84, s53                              // 00000000287C: D1ED0051 00D6A955
	v_perm_b32 v81, v86, v81, s54                              // 000000002884: D1ED0051 00DAA356
	v_perm_b32 v81, v87, v81, s55                              // 00000000288C: D1ED0051 00DEA357
	ds_write_b32 v13, v80 offset:6272                          // 000000002894: D81A1880 0000500D
	ds_write_b32 v13, v81 offset:7296                          // 00000000289C: D81A1C80 0000510D
	s_waitcnt lgkmcnt(0)                                       // 0000000028A4: BF8CC07F
	s_barrier                                                  // 0000000028A8: BF8A0000
	v_and_b32_e32 v46, v9, v46                                 // 0000000028AC: 265C5D09
	ds_read_b64 v[80:81], v12 offset:6272                      // 0000000028B0: D8EC1880 5000000C
	ds_read_b64 v[82:83], v12 offset:6400                      // 0000000028B8: D8EC1900 5200000C
	ds_read_b64 v[84:85], v12 offset:7296                      // 0000000028C0: D8EC1C80 5400000C
	ds_read_b64 v[86:87], v12 offset:7424                      // 0000000028C8: D8EC1D00 5600000C
	v_mov_b32_e32 v112, 0                                      // 0000000028D0: 7EE00280
	v_mov_b32_e32 v113, 0                                      // 0000000028D4: 7EE20280
	v_mov_b32_e32 v114, 0                                      // 0000000028D8: 7EE40280
	v_mov_b32_e32 v115, 0                                      // 0000000028DC: 7EE60280
	v_mov_b32_e32 v104, 0                                      // 0000000028E0: 7ED00280
	v_mov_b32_e32 v105, 0                                      // 0000000028E4: 7ED20280
	v_mov_b32_e32 v106, 0                                      // 0000000028E8: 7ED40280
	v_mov_b32_e32 v107, 0                                      // 0000000028EC: 7ED60280
	v_mov_b32_e32 v108, 0                                      // 0000000028F0: 7ED80280
	v_mov_b32_e32 v109, 0                                      // 0000000028F4: 7EDA0280
	v_mov_b32_e32 v110, 0                                      // 0000000028F8: 7EDC0280
	v_mov_b32_e32 v111, 0                                      // 0000000028FC: 7EDE0280
	v_or_b32_dpp v46, v46, v46 row_shr:8 row_mask:0xf bank_mask:0xf bound_ctrl:1// 000000002900: 285C5CFA FF09182E
	s_waitcnt vmcnt(8) lgkmcnt(0)                              // 000000002908: BF8C0078
	s_barrier                                                  // 00000000290C: BF8A0000
	s_cmp_lt_u32 s73, 16                                       // 000000002910: BF0A9049
	s_cbranch_scc1 label_09D5                                  // 000000002914: BF8507CF
	s_cmp_lt_i32 s7, 2                                         // 000000002918: BF048207
	s_cbranch_scc0 label_05F0                                  // 00000000291C: BF8403E8

0000000000002920 <label_0208>:
	s_waitcnt vmcnt(8) lgkmcnt(0)                              // 000000002920: BF8C0078
	v_mul_u32_u24_dpp v38, v17, v51 row_newbcast:0 row_mask:0xf bank_mask:0xf// 000000002924: 104C66FA FF015011
	v_mul_u32_u24_dpp v39, v17, v51 row_newbcast:4 row_mask:0xf bank_mask:0xf// 00000000292C: 104E66FA FF015411
	v_mul_u32_u24_dpp v40, v17, v51 row_newbcast:8 row_mask:0xf bank_mask:0xf// 000000002934: 105066FA FF015811
	v_mul_u32_u24_dpp v41, v17, v51 row_newbcast:12 row_mask:0xf bank_mask:0xf// 00000000293C: 105266FA FF015C11
	v_add_u32_e32 v26, v38, v6                                 // 000000002944: 68340D26
	v_add_u32_e32 v27, v39, v6                                 // 000000002948: 68360D27
	v_add_u32_e32 v28, v40, v6                                 // 00000000294C: 68380D28
	v_add_u32_e32 v29, v41, v6                                 // 000000002950: 683A0D29
	v_mul_u32_u24_dpp v38, v17, v61 quad_perm:[0,0,0,0] row_mask:0xf bank_mask:0xf// 000000002954: 104C7AFA FF000011
	v_add_u32_e32 v3, v38, v57                                 // 00000000295C: 68067326
	v_mul_u32_u24_dpp v38, v17, v61 quad_perm:[0,0,0,0] row_mask:0xf bank_mask:0xf// 000000002960: 104C7AFA FF000011
	v_add_u32_e32 v54, v38, v58                                // 000000002968: 686C7526
	v_mfma_i32_16x16x32_i8 v[88:91], a[0:1], v[80:81], 0       // 00000000296C: D3D70058 0A02A100
	v_mfma_i32_16x16x32_i8 v[88:91], a[2:3], v[82:83], v[88:91]// 000000002974: D3D70058 0D62A502
	buffer_load_dwordx4 a[32:35], v26, s[16:19], 0 offen       // 00000000297C: E05C1000 8084201A
	v_mfma_i32_16x16x32_i8 v[88:91], a[4:5], v[84:85], v[88:91]// 000000002984: D3D70058 0D62A904
	v_mfma_i32_16x16x32_i8 v[88:91], a[6:7], v[86:87], v[88:91]// 00000000298C: D3D70058 0D62AD06
	buffer_load_dword v16, v1, s[24:27], 0 offen               // 000000002994: E0501000 80061001
	v_mfma_i32_16x16x32_i8 v[92:95], a[8:9], v[80:81], 0       // 00000000299C: D3D7005C 0A02A108
	v_mfma_i32_16x16x32_i8 v[92:95], a[10:11], v[82:83], v[92:95]// 0000000029A4: D3D7005C 0D72A50A
	buffer_load_dwordx4 a[36:39], v26, s[16:19], 0 offen offset:1024// 0000000029AC: E05C1400 8084241A
	v_mfma_i32_16x16x32_i8 v[92:95], a[12:13], v[84:85], v[92:95]// 0000000029B4: D3D7005C 0D72A90C
	v_mfma_i32_16x16x32_i8 v[92:95], a[14:15], v[86:87], v[92:95]// 0000000029BC: D3D7005C 0D72AD0E
	v_mfma_i32_16x16x32_i8 v[96:99], a[16:17], v[80:81], 0     // 0000000029C4: D3D70060 0A02A110
	v_mfma_i32_16x16x32_i8 v[96:99], a[18:19], v[82:83], v[96:99]// 0000000029CC: D3D70060 0D82A512
	buffer_load_dwordx4 a[40:43], v27, s[16:19], 0 offen       // 0000000029D4: E05C1000 8084281B
	v_mfma_i32_16x16x32_i8 v[96:99], a[20:21], v[84:85], v[96:99]// 0000000029DC: D3D70060 0D82A914
	v_mfma_i32_16x16x32_i8 v[96:99], a[22:23], v[86:87], v[96:99]// 0000000029E4: D3D70060 0D82AD16
	v_mfma_i32_16x16x32_i8 v[100:103], a[24:25], v[80:81], 0   // 0000000029EC: D3D70064 0A02A118
	v_mfma_i32_16x16x32_i8 v[100:103], a[26:27], v[82:83], v[100:103]// 0000000029F4: D3D70064 0D92A51A
	buffer_load_dwordx4 a[44:47], v27, s[16:19], 0 offen offset:1024// 0000000029FC: E05C1400 80842C1B
	v_mfma_i32_16x16x32_i8 v[100:103], a[28:29], v[84:85], v[100:103]// 000000002A04: D3D70064 0D92A91C
	v_mfma_i32_16x16x32_i8 v[100:103], a[30:31], v[86:87], v[100:103]// 000000002A0C: D3D70064 0D92AD1E
	buffer_load_dword v45, v3, s[32:35], 0 offen               // 000000002A14: E0501000 80082D03
	v_mov_b32_dpp v38, v44 row_shr:4 row_mask:0xf bank_mask:0xf// 000000002A1C: 7E4C02FA FF01142C
	v_mov_b32_dpp v39, v44 row_shl:4 row_mask:0xf bank_mask:0xf// 000000002A24: 7E4E02FA FF01042C
	v_cndmask_b32_e64 v124, v44, v38, s[44:45]                 // 000000002A2C: D100007C 00B24D2C
	v_cndmask_b32_e64 v125, v39, v44, s[44:45]                 // 000000002A34: D100007D 00B25927
	v_mov_b32_dpp v38, v55 row_shr:4 row_mask:0xf bank_mask:0xf// 000000002A3C: 7E4C02FA FF011437
	v_mov_b32_dpp v39, v55 row_shl:4 row_mask:0xf bank_mask:0xf// 000000002A44: 7E4E02FA FF010437
	v_cndmask_b32_e64 v126, v55, v38, s[44:45]                 // 000000002A4C: D100007E 00B24D37
	v_cndmask_b32_e64 v127, v39, v55, s[44:45]                 // 000000002A54: D100007F 00B26F27
	v_or_b32_dpp v88, v96, v88 row_shr:8 row_mask:0xf bank_mask:0xf bound_ctrl:1// 000000002A5C: 28B0B0FA FF091860
	v_or_b32_dpp v89, v97, v89 row_shr:8 row_mask:0xf bank_mask:0xf bound_ctrl:1// 000000002A64: 28B2B2FA FF091861
	v_or_b32_dpp v90, v98, v90 row_shr:8 row_mask:0xf bank_mask:0xf bound_ctrl:1// 000000002A6C: 28B4B4FA FF091862
	v_or_b32_dpp v91, v99, v91 row_shr:8 row_mask:0xf bank_mask:0xf bound_ctrl:1// 000000002A74: 28B6B6FA FF091863
	v_or_b32_dpp v92, v100, v92 row_shr:8 row_mask:0xf bank_mask:0xf bound_ctrl:1// 000000002A7C: 28B8B8FA FF091864
	v_or_b32_dpp v93, v101, v93 row_shr:8 row_mask:0xf bank_mask:0xf bound_ctrl:1// 000000002A84: 28BABAFA FF091865
	v_or_b32_dpp v94, v102, v94 row_shr:8 row_mask:0xf bank_mask:0xf bound_ctrl:1// 000000002A8C: 28BCBCFA FF091866
	v_or_b32_dpp v95, v103, v95 row_shr:8 row_mask:0xf bank_mask:0xf bound_ctrl:1// 000000002A94: 28BEBEFA FF091867
	buffer_load_dword v56, v54, s[36:39], 0 offen              // 000000002A9C: E0501000 80093836
	v_cvt_f32_i32_e32 v88, v88                                 // 000000002AA4: 7EB00B58
	v_cvt_f32_i32_e32 v89, v89                                 // 000000002AA8: 7EB20B59
	v_cvt_f32_i32_e32 v90, v90                                 // 000000002AAC: 7EB40B5A
	v_cvt_f32_i32_e32 v91, v91                                 // 000000002AB0: 7EB60B5B
	v_cvt_f32_i32_e32 v92, v92                                 // 000000002AB4: 7EB80B5C
	v_cvt_f32_i32_e32 v93, v93                                 // 000000002AB8: 7EBA0B5D
	v_cvt_f32_i32_e32 v94, v94                                 // 000000002ABC: 7EBC0B5E
	v_cvt_f32_i32_e32 v95, v95                                 // 000000002AC0: 7EBE0B5F
	v_mul_f32_e32 v88, v46, v88                                // 000000002AC4: 0AB0B12E
	v_mul_f32_e32 v89, v46, v89                                // 000000002AC8: 0AB2B32E
	v_mul_f32_e32 v90, v46, v90                                // 000000002ACC: 0AB4B52E
	v_mul_f32_e32 v91, v46, v91                                // 000000002AD0: 0AB6B72E
	v_mul_f32_e32 v92, v46, v92                                // 000000002AD4: 0AB8B92E
	v_mul_f32_e32 v93, v46, v93                                // 000000002AD8: 0ABABB2E
	v_mul_f32_e32 v94, v46, v94                                // 000000002ADC: 0ABCBD2E
	v_mul_f32_e32 v95, v46, v95                                // 000000002AE0: 0ABEBF2E
	buffer_load_dwordx4 a[48:51], v28, s[16:19], 0 offen       // 000000002AE4: E05C1000 8084301C
	v_mul_f32_dpp v88, v124, v88 quad_perm:[0,0,0,0] row_mask:0xf bank_mask:0xf// 000000002AEC: 0AB0B0FA FF00007C
	v_mul_f32_dpp v89, v124, v89 quad_perm:[1,1,1,1] row_mask:0xf bank_mask:0xf// 000000002AF4: 0AB2B2FA FF00557C
	v_mul_f32_dpp v90, v124, v90 quad_perm:[2,2,2,2] row_mask:0xf bank_mask:0xf// 000000002AFC: 0AB4B4FA FF00AA7C
	v_mul_f32_dpp v91, v124, v91 quad_perm:[3,3,3,3] row_mask:0xf bank_mask:0xf// 000000002B04: 0AB6B6FA FF00FF7C
	v_mul_f32_dpp v92, v125, v92 quad_perm:[0,0,0,0] row_mask:0xf bank_mask:0xf// 000000002B0C: 0AB8B8FA FF00007D
	v_mul_f32_dpp v93, v125, v93 quad_perm:[1,1,1,1] row_mask:0xf bank_mask:0xf// 000000002B14: 0ABABAFA FF00557D
	v_mul_f32_dpp v94, v125, v94 quad_perm:[2,2,2,2] row_mask:0xf bank_mask:0xf// 000000002B1C: 0ABCBCFA FF00AA7D
	v_mul_f32_dpp v95, v125, v95 quad_perm:[3,3,3,3] row_mask:0xf bank_mask:0xf// 000000002B24: 0ABEBEFA FF00FF7D
	buffer_load_dwordx4 a[52:55], v28, s[16:19], 0 offen offset:1024// 000000002B2C: E05C1400 8084341C
	v_mov_b32_e32 v48, v88                                     // 000000002B34: 7E600358
	v_max3_f32 v48, v88, v89, v48                              // 000000002B38: D1D30030 04C2B358
	v_max3_f32 v48, v90, v91, v48                              // 000000002B40: D1D30030 04C2B75A
	v_max3_f32 v48, v92, v93, v48                              // 000000002B48: D1D30030 04C2BB5C
	v_max3_f32 v48, v94, v95, v48                              // 000000002B50: D1D30030 04C2BF5E
	ds_write_b32 v11, v48 offset:4224                          // 000000002B58: D81A1080 0000300B
	buffer_load_dwordx4 a[56:59], v29, s[16:19], 0 offen       // 000000002B60: E05C1000 8084381D
	v_mul_u32_u24_dpp v38, v17, v51 row_newbcast:1 row_mask:0xf bank_mask:0xf// 000000002B68: 104C66FA FF015111
	v_mul_u32_u24_dpp v39, v17, v51 row_newbcast:5 row_mask:0xf bank_mask:0xf// 000000002B70: 104E66FA FF015511
	v_mul_u32_u24_dpp v40, v17, v51 row_newbcast:9 row_mask:0xf bank_mask:0xf// 000000002B78: 105066FA FF015911
	v_mul_u32_u24_dpp v41, v17, v51 row_newbcast:13 row_mask:0xf bank_mask:0xf// 000000002B80: 105266FA FF015D11
	v_add_u32_e32 v34, v38, v7                                 // 000000002B88: 68440F26
	v_add_u32_e32 v35, v39, v7                                 // 000000002B8C: 68460F27
	v_add_u32_e32 v36, v40, v7                                 // 000000002B90: 68480F28
	v_add_u32_e32 v37, v41, v7                                 // 000000002B94: 684A0F29
	s_waitcnt lgkmcnt(0)                                       // 000000002B98: BF8CC07F
	s_barrier                                                  // 000000002B9C: BF8A0000
	ds_read_b32 v64, v10 offset:4224                           // 000000002BA0: D86C1080 4000000A
	ds_read_b32 v65, v10 offset:4288                           // 000000002BA8: D86C10C0 4100000A
	ds_read_b32 v66, v10 offset:4352                           // 000000002BB0: D86C1100 4200000A
	ds_read_b32 v67, v10 offset:4416                           // 000000002BB8: D86C1140 4300000A
	ds_read_b32 v68, v10 offset:4480                           // 000000002BC0: D86C1180 4400000A
	ds_read_b32 v69, v10 offset:4544                           // 000000002BC8: D86C11C0 4500000A
	ds_read_b32 v70, v10 offset:4608                           // 000000002BD0: D86C1200 4600000A
	ds_read_b32 v71, v10 offset:4672                           // 000000002BD8: D86C1240 4700000A
	ds_read_b32 v72, v10 offset:4736                           // 000000002BE0: D86C1280 4800000A
	ds_read_b32 v73, v10 offset:4800                           // 000000002BE8: D86C12C0 4900000A
	ds_read_b32 v74, v10 offset:4864                           // 000000002BF0: D86C1300 4A00000A
	ds_read_b32 v75, v10 offset:4928                           // 000000002BF8: D86C1340 4B00000A
	ds_read_b32 v76, v10 offset:4992                           // 000000002C00: D86C1380 4C00000A
	ds_read_b32 v77, v10 offset:5056                           // 000000002C08: D86C13C0 4D00000A
	ds_read_b32 v78, v10 offset:5120                           // 000000002C10: D86C1400 4E00000A
	ds_read_b32 v79, v10 offset:5184                           // 000000002C18: D86C1440 4F00000A
	buffer_load_dwordx4 a[60:63], v29, s[16:19], 0 offen offset:1024// 000000002C20: E05C1400 80843C1D
	v_mul_f32_e32 v112, v49, v112                              // 000000002C28: 0AE0E131
	v_mul_f32_e32 v113, v49, v113                              // 000000002C2C: 0AE2E331
	v_mul_f32_e32 v114, v49, v114                              // 000000002C30: 0AE4E531
	v_mul_f32_e32 v115, v49, v115                              // 000000002C34: 0AE6E731
	v_or_b32_dpp v104, v108, v104 row_shr:8 row_mask:0xf bank_mask:0xf bound_ctrl:1// 000000002C38: 28D0D0FA FF09186C
	v_or_b32_dpp v105, v109, v105 row_shr:8 row_mask:0xf bank_mask:0xf bound_ctrl:1// 000000002C40: 28D2D2FA FF09186D
	v_or_b32_dpp v106, v110, v106 row_shr:8 row_mask:0xf bank_mask:0xf bound_ctrl:1// 000000002C48: 28D4D4FA FF09186E
	v_or_b32_dpp v107, v111, v107 row_shr:8 row_mask:0xf bank_mask:0xf bound_ctrl:1// 000000002C50: 28D6D6FA FF09186F
	s_waitcnt lgkmcnt(0)                                       // 000000002C58: BF8CC07F
	v_max3_f32 v48, v64, v65, v48                              // 000000002C5C: D1D30030 04C28340
	v_max3_f32 v48, v66, v67, v48                              // 000000002C64: D1D30030 04C28742
	v_max3_f32 v48, v68, v69, v48                              // 000000002C6C: D1D30030 04C28B44
	v_max3_f32 v48, v70, v71, v48                              // 000000002C74: D1D30030 04C28F46
	v_max3_f32 v48, v72, v73, v48                              // 000000002C7C: D1D30030 04C29348
	v_max3_f32 v48, v74, v75, v48                              // 000000002C84: D1D30030 04C2974A
	v_max3_f32 v48, v76, v77, v48                              // 000000002C8C: D1D30030 04C29B4C
	v_max3_f32 v48, v78, v79, v48                              // 000000002C94: D1D30030 04C29F4E
	buffer_load_dwordx4 a[96:99], v34, s[20:23], 0 offen       // 000000002C9C: E05C1000 80856022
	v_cmp_eq_u32_e64 s[40:41], v52, v14                        // 000000002CA4: D0CA0028 00021D34
	s_nop 1                                                    // 000000002CAC: BF800001
	v_mov_b32_dpp v38, v48 row_ror:8 row_mask:0xf bank_mask:0xf// 000000002CB0: 7E4C02FA FF012830
	v_max_f32_e32 v48, v48, v38                                // 000000002CB8: 16604D30
	v_max_f32_e32 v15, v48, v14                                // 000000002CBC: 161E1D30
	v_mul_f32_e32 v50, s64, v15                                // 000000002CC0: 0A641E40
	v_fma_f32 v88, v88, s64, -v50                              // 000000002CC4: D1CB0058 84C88158
	v_fma_f32 v89, v89, s64, -v50                              // 000000002CCC: D1CB0059 84C88159
	v_fma_f32 v90, v90, s64, -v50                              // 000000002CD4: D1CB005A 84C8815A
	v_fma_f32 v91, v91, s64, -v50                              // 000000002CDC: D1CB005B 84C8815B
	v_fma_f32 v92, v92, s64, -v50                              // 000000002CE4: D1CB005C 84C8815C
	v_fma_f32 v93, v93, s64, -v50                              // 000000002CEC: D1CB005D 84C8815D
	v_fma_f32 v94, v94, s64, -v50                              // 000000002CF4: D1CB005E 84C8815E
	v_fma_f32 v95, v95, s64, -v50                              // 000000002CFC: D1CB005F 84C8815F
	buffer_load_dwordx4 a[100:103], v35, s[20:23], 0 offen     // 000000002D04: E05C1000 80856423
	v_exp_f32_e32 v88, v88                                     // 000000002D0C: 7EB04158
	v_exp_f32_e32 v89, v89                                     // 000000002D10: 7EB24159
	v_exp_f32_e32 v90, v90                                     // 000000002D14: 7EB4415A
	v_exp_f32_e32 v91, v91                                     // 000000002D18: 7EB6415B
	v_exp_f32_e32 v92, v92                                     // 000000002D1C: 7EB8415C
	v_exp_f32_e32 v93, v93                                     // 000000002D20: 7EBA415D
	v_exp_f32_e32 v94, v94                                     // 000000002D24: 7EBC415E
	v_exp_f32_e32 v95, v95                                     // 000000002D28: 7EBE415F
	buffer_load_dwordx4 a[104:107], v36, s[20:23], 0 offen     // 000000002D2C: E05C1000 80856824
	v_mul_f32_dpp v116, v126, v88 quad_perm:[0,0,0,0] row_mask:0xf bank_mask:0xf// 000000002D34: 0AE8B0FA FF00007E
	v_mul_f32_dpp v117, v126, v89 quad_perm:[1,1,1,1] row_mask:0xf bank_mask:0xf// 000000002D3C: 0AEAB2FA FF00557E
	v_mul_f32_dpp v118, v126, v90 quad_perm:[2,2,2,2] row_mask:0xf bank_mask:0xf// 000000002D44: 0AECB4FA FF00AA7E
	v_mul_f32_dpp v119, v126, v91 quad_perm:[3,3,3,3] row_mask:0xf bank_mask:0xf// 000000002D4C: 0AEEB6FA FF00FF7E
	v_mul_f32_dpp v120, v127, v92 quad_perm:[0,0,0,0] row_mask:0xf bank_mask:0xf// 000000002D54: 0AF0B8FA FF00007F
	v_mul_f32_dpp v121, v127, v93 quad_perm:[1,1,1,1] row_mask:0xf bank_mask:0xf// 000000002D5C: 0AF2BAFA FF00557F
	v_mul_f32_dpp v122, v127, v94 quad_perm:[2,2,2,2] row_mask:0xf bank_mask:0xf// 000000002D64: 0AF4BCFA FF00AA7F
	v_mul_f32_dpp v123, v127, v95 quad_perm:[3,3,3,3] row_mask:0xf bank_mask:0xf// 000000002D6C: 0AF6BEFA FF00FF7F
	v_mov_b32_e32 v48, 0x358637bd                              // 000000002D74: 7E6002FF 358637BD
	v_max3_f32 v48, |v116|, |v117|, v48                        // 000000002D7C: D1D30330 04C2EB74
	v_max3_f32 v48, |v118|, |v119|, v48                        // 000000002D84: D1D30330 04C2EF76
	v_max3_f32 v48, |v120|, |v121|, v48                        // 000000002D8C: D1D30330 04C2F378
	v_max3_f32 v48, |v122|, |v123|, v48                        // 000000002D94: D1D30330 04C2F77A
	buffer_load_dwordx4 a[108:111], v37, s[20:23], 0 offen     // 000000002D9C: E05C1000 80856C25
	ds_write_b32 v11, v48 offset:5248                          // 000000002DA4: D81A1480 0000300B
	v_sub_f32_e32 v49, v14, v15                                // 000000002DAC: 04621F0E
	v_cndmask_b32_e64 v49, v49, 0, s[40:41]                    // 000000002DB0: D1000031 00A10131
	v_mov_b32_e32 v14, v15                                     // 000000002DB8: 7E1C030F
	v_mul_f32_e32 v49, s64, v49                                // 000000002DBC: 0A626240
	v_exp_f32_e32 v49, v49                                     // 000000002DC0: 7E624131
	s_waitcnt lgkmcnt(0)                                       // 000000002DC4: BF8CC07F
	s_barrier                                                  // 000000002DC8: BF8A0000
	ds_read_b32 v64, v10 offset:5248                           // 000000002DCC: D86C1480 4000000A
	ds_read_b32 v65, v10 offset:5312                           // 000000002DD4: D86C14C0 4100000A
	ds_read_b32 v66, v10 offset:5376                           // 000000002DDC: D86C1500 4200000A
	ds_read_b32 v67, v10 offset:5440                           // 000000002DE4: D86C1540 4300000A
	ds_read_b32 v68, v10 offset:5504                           // 000000002DEC: D86C1580 4400000A
	ds_read_b32 v69, v10 offset:5568                           // 000000002DF4: D86C15C0 4500000A
	ds_read_b32 v70, v10 offset:5632                           // 000000002DFC: D86C1600 4600000A
	ds_read_b32 v71, v10 offset:5696                           // 000000002E04: D86C1640 4700000A
	ds_read_b32 v72, v10 offset:5760                           // 000000002E0C: D86C1680 4800000A
	ds_read_b32 v73, v10 offset:5824                           // 000000002E14: D86C16C0 4900000A
	ds_read_b32 v74, v10 offset:5888                           // 000000002E1C: D86C1700 4A00000A
	ds_read_b32 v75, v10 offset:5952                           // 000000002E24: D86C1740 4B00000A
	ds_read_b32 v76, v10 offset:6016                           // 000000002E2C: D86C1780 4C00000A
	ds_read_b32 v77, v10 offset:6080                           // 000000002E34: D86C17C0 4D00000A
	ds_read_b32 v78, v10 offset:6144                           // 000000002E3C: D86C1800 4E00000A
	ds_read_b32 v79, v10 offset:6208                           // 000000002E44: D86C1840 4F00000A
	v_mul_f32_e32 v42, v49, v42                                // 000000002E4C: 0A545531
	v_mov_b32_e32 v43, v88                                     // 000000002E50: 7E560358
	v_add_f32_e32 v43, v89, v43                                // 000000002E54: 02565759
	v_add_f32_e32 v43, v90, v43                                // 000000002E58: 0256575A
	v_add_f32_e32 v43, v91, v43                                // 000000002E5C: 0256575B
	v_add_f32_e32 v43, v92, v43                                // 000000002E60: 0256575C
	v_add_f32_e32 v43, v93, v43                                // 000000002E64: 0256575D
	v_add_f32_e32 v43, v94, v43                                // 000000002E68: 0256575E
	v_add_f32_e32 v43, v95, v43                                // 000000002E6C: 0256575F
	v_add_f32_e32 v42, v43, v42                                // 000000002E70: 0254552B
	s_waitcnt lgkmcnt(0)                                       // 000000002E74: BF8CC07F
	v_max3_f32 v48, |v64|, |v65|, v48                          // 000000002E78: D1D30330 04C28340
	v_max3_f32 v48, |v66|, |v67|, v48                          // 000000002E80: D1D30330 04C28742
	v_max3_f32 v48, |v68|, |v69|, v48                          // 000000002E88: D1D30330 04C28B44
	v_max3_f32 v48, |v70|, |v71|, v48                          // 000000002E90: D1D30330 04C28F46
	v_max3_f32 v48, |v72|, |v73|, v48                          // 000000002E98: D1D30330 04C29348
	v_max3_f32 v48, |v74|, |v75|, v48                          // 000000002EA0: D1D30330 04C2974A
	v_max3_f32 v48, |v76|, |v77|, v48                          // 000000002EA8: D1D30330 04C29B4C
	v_max3_f32 v48, |v78|, |v79|, v48                          // 000000002EB0: D1D30330 04C29F4E
	s_nop 2                                                    // 000000002EB8: BF800002
	v_mov_b32_dpp v38, v48 row_ror:8 row_mask:0xf bank_mask:0xf// 000000002EBC: 7E4C02FA FF012830
	v_max_f32_e32 v48, v48, v38                                // 000000002EC4: 16604D30
	v_rcp_f32_e32 v48, v48                                     // 000000002EC8: 7E604530
	s_nop 1                                                    // 000000002ECC: BF800001
	v_mul_f32_e32 v48, 0x42fe0000, v48                         // 000000002ED0: 0A6060FF 42FE0000
	v_mul_f32_e32 v88, v48, v116                               // 000000002ED8: 0AB0E930
	v_mul_f32_e32 v89, v48, v117                               // 000000002EDC: 0AB2EB30
	v_mul_f32_e32 v90, v48, v118                               // 000000002EE0: 0AB4ED30
	v_mul_f32_e32 v91, v48, v119                               // 000000002EE4: 0AB6EF30
	v_mul_f32_e32 v92, v48, v120                               // 000000002EE8: 0AB8F130
	v_mul_f32_e32 v93, v48, v121                               // 000000002EEC: 0ABAF330
	v_mul_f32_e32 v94, v48, v122                               // 000000002EF0: 0ABCF530
	v_mul_f32_e32 v95, v48, v123                               // 000000002EF4: 0ABEF730
	v_cvt_i32_f32_e32 v88, v88                                 // 000000002EF8: 7EB01158
	v_cvt_i32_f32_e32 v89, v89                                 // 000000002EFC: 7EB21159
	v_cvt_i32_f32_e32 v90, v90                                 // 000000002F00: 7EB4115A
	v_cvt_i32_f32_e32 v91, v91                                 // 000000002F04: 7EB6115B
	v_cvt_i32_f32_e32 v92, v92                                 // 000000002F08: 7EB8115C
	v_cvt_i32_f32_e32 v93, v93                                 // 000000002F0C: 7EBA115D
	v_cvt_i32_f32_e32 v94, v94                                 // 000000002F10: 7EBC115E
	v_cvt_i32_f32_e32 v95, v95                                 // 000000002F14: 7EBE115F
	v_perm_b32 v88, v89, v88, s53                              // 000000002F18: D1ED0058 00D6B159
	v_perm_b32 v88, v90, v88, s54                              // 000000002F20: D1ED0058 00DAB15A
	v_perm_b32 v88, v91, v88, s55                              // 000000002F28: D1ED0058 00DEB15B
	v_perm_b32 v89, v93, v92, s53                              // 000000002F30: D1ED0059 00D6B95D
	v_perm_b32 v89, v94, v89, s54                              // 000000002F38: D1ED0059 00DAB35E
	v_perm_b32 v89, v95, v89, s55                              // 000000002F40: D1ED0059 00DEB35F
	ds_write_b32 v13, v88 offset:6272                          // 000000002F48: D81A1880 0000580D
	ds_write_b32 v13, v89 offset:7296                          // 000000002F50: D81A1C80 0000590D
	v_cvt_f32_i32_e32 v104, v104                               // 000000002F58: 7ED00B68
	v_cvt_f32_i32_e32 v105, v105                               // 000000002F5C: 7ED20B69
	v_cvt_f32_i32_e32 v106, v106                               // 000000002F60: 7ED40B6A
	v_cvt_f32_i32_e32 v107, v107                               // 000000002F64: 7ED60B6B
	v_mul_f32_e32 v104, v47, v104                              // 000000002F68: 0AD0D12F
	v_mul_f32_e32 v105, v47, v105                              // 000000002F6C: 0AD2D32F
	v_mul_f32_e32 v106, v47, v106                              // 000000002F70: 0AD4D52F
	v_mul_f32_e32 v107, v47, v107                              // 000000002F74: 0AD6D72F
	v_rcp_f32_e32 v47, v48                                     // 000000002F78: 7E5E4530
	s_waitcnt lgkmcnt(0)                                       // 000000002F7C: BF8CC07F
	s_barrier                                                  // 000000002F80: BF8A0000
	ds_read_b64 v[88:89], v12 offset:6272                      // 000000002F84: D8EC1880 5800000C
	ds_read_b64 v[90:91], v12 offset:6400                      // 000000002F8C: D8EC1900 5A00000C
	ds_read_b64 v[92:93], v12 offset:7296                      // 000000002F94: D8EC1C80 5C00000C
	ds_read_b64 v[94:95], v12 offset:7424                      // 000000002F9C: D8EC1D00 5E00000C
	v_add_f32_e32 v112, v112, v104                             // 000000002FA4: 02E0D170
	v_add_f32_e32 v113, v113, v105                             // 000000002FA8: 02E2D371
	v_add_f32_e32 v114, v114, v106                             // 000000002FAC: 02E4D572
	v_add_f32_e32 v115, v115, v107                             // 000000002FB0: 02E6D773
	s_waitcnt lgkmcnt(3)                                       // 000000002FB4: BF8CC37F
	v_mov_b32_dpp v96, v88 row_shl:8 row_mask:0xf bank_mask:0xf bound_ctrl:1// 000000002FB8: 7EC002FA FF090858
	v_and_b32_e32 v88, v88, v9                                 // 000000002FC0: 26B01358
	v_mov_b32_dpp v97, v89 row_shl:8 row_mask:0xf bank_mask:0xf bound_ctrl:1// 000000002FC4: 7EC202FA FF090859
	v_and_b32_e32 v89, v89, v9                                 // 000000002FCC: 26B21359
	s_waitcnt lgkmcnt(2)                                       // 000000002FD0: BF8CC27F
	v_mov_b32_dpp v98, v90 row_shl:8 row_mask:0xf bank_mask:0xf bound_ctrl:1// 000000002FD4: 7EC402FA FF09085A
	v_and_b32_e32 v90, v90, v9                                 // 000000002FDC: 26B4135A
	v_mov_b32_dpp v99, v91 row_shl:8 row_mask:0xf bank_mask:0xf bound_ctrl:1// 000000002FE0: 7EC602FA FF09085B
	v_and_b32_e32 v91, v91, v9                                 // 000000002FE8: 26B6135B
	s_waitcnt lgkmcnt(1)                                       // 000000002FEC: BF8CC17F
	v_mov_b32_dpp v100, v92 row_shl:8 row_mask:0xf bank_mask:0xf bound_ctrl:1// 000000002FF0: 7EC802FA FF09085C
	v_and_b32_e32 v92, v92, v9                                 // 000000002FF8: 26B8135C
	v_mov_b32_dpp v101, v93 row_shl:8 row_mask:0xf bank_mask:0xf bound_ctrl:1// 000000002FFC: 7ECA02FA FF09085D
	v_and_b32_e32 v93, v93, v9                                 // 000000003004: 26BA135D
	s_waitcnt lgkmcnt(0)                                       // 000000003008: BF8CC07F
	v_mov_b32_dpp v102, v94 row_shl:8 row_mask:0xf bank_mask:0xf bound_ctrl:1// 00000000300C: 7ECC02FA FF09085E
	v_and_b32_e32 v94, v94, v9                                 // 000000003014: 26BC135E
	v_mov_b32_dpp v103, v95 row_shl:8 row_mask:0xf bank_mask:0xf bound_ctrl:1// 000000003018: 7ECE02FA FF09085F
	v_and_b32_e32 v95, v95, v9                                 // 000000003020: 26BE135F
	s_waitcnt vmcnt(15)                                        // 000000003024: BF8C0F7F
	v_mfma_i32_16x16x32_i8 v[104:107], a[64:65], v[88:89], 0   // 000000003028: D3D70068 0A02B140
	v_mfma_i32_16x16x32_i8 v[104:107], a[66:67], v[90:91], v[104:107]// 000000003030: D3D70068 0DA2B542
	buffer_load_dwordx4 a[112:115], v34, s[20:23], 0 offen offset:1024// 000000003038: E05C1400 80857022
	v_mfma_i32_16x16x32_i8 v[104:107], a[68:69], v[92:93], v[104:107]// 000000003040: D3D70068 0DA2B944
	v_mfma_i32_16x16x32_i8 v[104:107], a[70:71], v[94:95], v[104:107]// 000000003048: D3D70068 0DA2BD46
	v_mfma_i32_16x16x32_i8 v[104:107], a[72:73], v[96:97], v[104:107]// 000000003050: D3D70068 0DA2C148
	v_mfma_i32_16x16x32_i8 v[104:107], a[74:75], v[98:99], v[104:107]// 000000003058: D3D70068 0DA2C54A
	buffer_load_dwordx4 a[116:119], v35, s[20:23], 0 offen offset:1024// 000000003060: E05C1400 80857423
	v_mfma_i32_16x16x32_i8 v[104:107], a[76:77], v[100:101], v[104:107]// 000000003068: D3D70068 0DA2C94C
	v_mfma_i32_16x16x32_i8 v[104:107], a[78:79], v[102:103], v[104:107]// 000000003070: D3D70068 0DA2CD4E
	v_mfma_i32_16x16x32_i8 v[108:111], a[80:81], v[88:89], 0   // 000000003078: D3D7006C 0A02B150
	v_mfma_i32_16x16x32_i8 v[108:111], a[82:83], v[90:91], v[108:111]// 000000003080: D3D7006C 0DB2B552
	buffer_load_dwordx4 a[120:123], v36, s[20:23], 0 offen offset:1024// 000000003088: E05C1400 80857824
	v_mfma_i32_16x16x32_i8 v[108:111], a[84:85], v[92:93], v[108:111]// 000000003090: D3D7006C 0DB2B954
	v_mfma_i32_16x16x32_i8 v[108:111], a[86:87], v[94:95], v[108:111]// 000000003098: D3D7006C 0DB2BD56
	v_mfma_i32_16x16x32_i8 v[108:111], a[88:89], v[96:97], v[108:111]// 0000000030A0: D3D7006C 0DB2C158
	v_mfma_i32_16x16x32_i8 v[108:111], a[90:91], v[98:99], v[108:111]// 0000000030A8: D3D7006C 0DB2C55A
	buffer_load_dwordx4 a[124:127], v37, s[20:23], 0 offen offset:1024// 0000000030B0: E05C1400 80857C25
	v_mfma_i32_16x16x32_i8 v[108:111], a[92:93], v[100:101], v[108:111]// 0000000030B8: D3D7006C 0DB2C95C
	s_lshr_b32 s57, s70, 4                                     // 0000000030C0: 8F398446
	s_add_u32 s57, 48, s57                                     // 0000000030C4: 803939B0
	v_mfma_i32_16x16x32_i8 v[108:111], a[94:95], v[102:103], v[108:111]// 0000000030C8: D3D7006C 0DB2CD5E
	s_cmp_ge_u32 s57, s73                                      // 0000000030D0: BF094939
	s_cselect_b32 s56, 0, s56                                  // 0000000030D4: 85383880
	v_add_u32_e32 v1, s56, v1                                  // 0000000030D8: 68020238
	s_addk_i32 s70, 0x100                                      // 0000000030DC: B7460100
	s_cmp_lt_i32 s70, s71                                      // 0000000030E0: BF044746
	s_cbranch_scc0 label_05ED                                  // 0000000030E4: BF8401F3
	s_waitcnt vmcnt(8) lgkmcnt(0)                              // 0000000030E8: BF8C0078
	v_mul_u32_u24_dpp v38, v16, v51 row_newbcast:0 row_mask:0xf bank_mask:0xf// 0000000030EC: 104C66FA FF015010
	v_mul_u32_u24_dpp v39, v16, v51 row_newbcast:4 row_mask:0xf bank_mask:0xf// 0000000030F4: 104E66FA FF015410
	v_mul_u32_u24_dpp v40, v16, v51 row_newbcast:8 row_mask:0xf bank_mask:0xf// 0000000030FC: 105066FA FF015810
	v_mul_u32_u24_dpp v41, v16, v51 row_newbcast:12 row_mask:0xf bank_mask:0xf// 000000003104: 105266FA FF015C10
	v_add_u32_e32 v22, v38, v6                                 // 00000000310C: 682C0D26
	v_add_u32_e32 v23, v39, v6                                 // 000000003110: 682E0D27
	v_add_u32_e32 v24, v40, v6                                 // 000000003114: 68300D28
	v_add_u32_e32 v25, v41, v6                                 // 000000003118: 68320D29
	v_mul_u32_u24_dpp v38, v16, v61 quad_perm:[0,0,0,0] row_mask:0xf bank_mask:0xf// 00000000311C: 104C7AFA FF000010
	v_add_u32_e32 v2, v38, v57                                 // 000000003124: 68047326
	v_mul_u32_u24_dpp v38, v16, v61 quad_perm:[0,0,0,0] row_mask:0xf bank_mask:0xf// 000000003128: 104C7AFA FF000010
	v_add_u32_e32 v53, v38, v58                                // 000000003130: 686A7526
	v_mfma_i32_16x16x32_i8 v[88:91], a[32:33], v[80:81], 0     // 000000003134: D3D70058 0A02A120
	v_mfma_i32_16x16x32_i8 v[88:91], a[34:35], v[82:83], v[88:91]// 00000000313C: D3D70058 0D62A522
	buffer_load_dwordx4 a[0:3], v22, s[16:19], 0 offen         // 000000003144: E05C1000 80840016
	v_mfma_i32_16x16x32_i8 v[88:91], a[36:37], v[84:85], v[88:91]// 00000000314C: D3D70058 0D62A924
	v_mfma_i32_16x16x32_i8 v[88:91], a[38:39], v[86:87], v[88:91]// 000000003154: D3D70058 0D62AD26
	buffer_load_dword v17, v1, s[24:27], 0 offen               // 00000000315C: E0501000 80061101
	v_mfma_i32_16x16x32_i8 v[92:95], a[40:41], v[80:81], 0     // 000000003164: D3D7005C 0A02A128
	v_mfma_i32_16x16x32_i8 v[92:95], a[42:43], v[82:83], v[92:95]// 00000000316C: D3D7005C 0D72A52A
	buffer_load_dwordx4 a[4:7], v22, s[16:19], 0 offen offset:1024// 000000003174: E05C1400 80840416
	v_mfma_i32_16x16x32_i8 v[92:95], a[44:45], v[84:85], v[92:95]// 00000000317C: D3D7005C 0D72A92C
	v_mfma_i32_16x16x32_i8 v[92:95], a[46:47], v[86:87], v[92:95]// 000000003184: D3D7005C 0D72AD2E
	v_mfma_i32_16x16x32_i8 v[96:99], a[48:49], v[80:81], 0     // 00000000318C: D3D70060 0A02A130
	v_mfma_i32_16x16x32_i8 v[96:99], a[50:51], v[82:83], v[96:99]// 000000003194: D3D70060 0D82A532
	buffer_load_dwordx4 a[8:11], v23, s[16:19], 0 offen        // 00000000319C: E05C1000 80840817
	v_mfma_i32_16x16x32_i8 v[96:99], a[52:53], v[84:85], v[96:99]// 0000000031A4: D3D70060 0D82A934
	v_mfma_i32_16x16x32_i8 v[96:99], a[54:55], v[86:87], v[96:99]// 0000000031AC: D3D70060 0D82AD36
	v_mfma_i32_16x16x32_i8 v[100:103], a[56:57], v[80:81], 0   // 0000000031B4: D3D70064 0A02A138
	v_mfma_i32_16x16x32_i8 v[100:103], a[58:59], v[82:83], v[100:103]// 0000000031BC: D3D70064 0D92A53A
	buffer_load_dwordx4 a[12:15], v23, s[16:19], 0 offen offset:1024// 0000000031C4: E05C1400 80840C17
	v_mfma_i32_16x16x32_i8 v[100:103], a[60:61], v[84:85], v[100:103]// 0000000031CC: D3D70064 0D92A93C
	v_mfma_i32_16x16x32_i8 v[100:103], a[62:63], v[86:87], v[100:103]// 0000000031D4: D3D70064 0D92AD3E
	buffer_load_dword v44, v2, s[32:35], 0 offen               // 0000000031DC: E0501000 80082C02
	v_mov_b32_dpp v38, v45 row_shr:4 row_mask:0xf bank_mask:0xf// 0000000031E4: 7E4C02FA FF01142D
	v_mov_b32_dpp v39, v45 row_shl:4 row_mask:0xf bank_mask:0xf// 0000000031EC: 7E4E02FA FF01042D
	v_cndmask_b32_e64 v124, v45, v38, s[44:45]                 // 0000000031F4: D100007C 00B24D2D
	v_cndmask_b32_e64 v125, v39, v45, s[44:45]                 // 0000000031FC: D100007D 00B25B27
	v_mov_b32_dpp v38, v56 row_shr:4 row_mask:0xf bank_mask:0xf// 000000003204: 7E4C02FA FF011438
	v_mov_b32_dpp v39, v56 row_shl:4 row_mask:0xf bank_mask:0xf// 00000000320C: 7E4E02FA FF010438
	v_cndmask_b32_e64 v126, v56, v38, s[44:45]                 // 000000003214: D100007E 00B24D38
	v_cndmask_b32_e64 v127, v39, v56, s[44:45]                 // 00000000321C: D100007F 00B27127
	v_or_b32_dpp v88, v96, v88 row_shr:8 row_mask:0xf bank_mask:0xf bound_ctrl:1// 000000003224: 28B0B0FA FF091860
	v_or_b32_dpp v89, v97, v89 row_shr:8 row_mask:0xf bank_mask:0xf bound_ctrl:1// 00000000322C: 28B2B2FA FF091861
	v_or_b32_dpp v90, v98, v90 row_shr:8 row_mask:0xf bank_mask:0xf bound_ctrl:1// 000000003234: 28B4B4FA FF091862
	v_or_b32_dpp v91, v99, v91 row_shr:8 row_mask:0xf bank_mask:0xf bound_ctrl:1// 00000000323C: 28B6B6FA FF091863
	v_or_b32_dpp v92, v100, v92 row_shr:8 row_mask:0xf bank_mask:0xf bound_ctrl:1// 000000003244: 28B8B8FA FF091864
	v_or_b32_dpp v93, v101, v93 row_shr:8 row_mask:0xf bank_mask:0xf bound_ctrl:1// 00000000324C: 28BABAFA FF091865
	v_or_b32_dpp v94, v102, v94 row_shr:8 row_mask:0xf bank_mask:0xf bound_ctrl:1// 000000003254: 28BCBCFA FF091866
	v_or_b32_dpp v95, v103, v95 row_shr:8 row_mask:0xf bank_mask:0xf bound_ctrl:1// 00000000325C: 28BEBEFA FF091867
	buffer_load_dword v55, v53, s[36:39], 0 offen              // 000000003264: E0501000 80093735
	v_cvt_f32_i32_e32 v88, v88                                 // 00000000326C: 7EB00B58
	v_cvt_f32_i32_e32 v89, v89                                 // 000000003270: 7EB20B59
	v_cvt_f32_i32_e32 v90, v90                                 // 000000003274: 7EB40B5A
	v_cvt_f32_i32_e32 v91, v91                                 // 000000003278: 7EB60B5B
	v_cvt_f32_i32_e32 v92, v92                                 // 00000000327C: 7EB80B5C
	v_cvt_f32_i32_e32 v93, v93                                 // 000000003280: 7EBA0B5D
	v_cvt_f32_i32_e32 v94, v94                                 // 000000003284: 7EBC0B5E
	v_cvt_f32_i32_e32 v95, v95                                 // 000000003288: 7EBE0B5F
	v_mul_f32_e32 v88, v46, v88                                // 00000000328C: 0AB0B12E
	v_mul_f32_e32 v89, v46, v89                                // 000000003290: 0AB2B32E
	v_mul_f32_e32 v90, v46, v90                                // 000000003294: 0AB4B52E
	v_mul_f32_e32 v91, v46, v91                                // 000000003298: 0AB6B72E
	v_mul_f32_e32 v92, v46, v92                                // 00000000329C: 0AB8B92E
	v_mul_f32_e32 v93, v46, v93                                // 0000000032A0: 0ABABB2E
	v_mul_f32_e32 v94, v46, v94                                // 0000000032A4: 0ABCBD2E
	v_mul_f32_e32 v95, v46, v95                                // 0000000032A8: 0ABEBF2E
	buffer_load_dwordx4 a[16:19], v24, s[16:19], 0 offen       // 0000000032AC: E05C1000 80841018
	v_mul_f32_dpp v88, v124, v88 quad_perm:[0,0,0,0] row_mask:0xf bank_mask:0xf// 0000000032B4: 0AB0B0FA FF00007C
	v_mul_f32_dpp v89, v124, v89 quad_perm:[1,1,1,1] row_mask:0xf bank_mask:0xf// 0000000032BC: 0AB2B2FA FF00557C
	v_mul_f32_dpp v90, v124, v90 quad_perm:[2,2,2,2] row_mask:0xf bank_mask:0xf// 0000000032C4: 0AB4B4FA FF00AA7C
	v_mul_f32_dpp v91, v124, v91 quad_perm:[3,3,3,3] row_mask:0xf bank_mask:0xf// 0000000032CC: 0AB6B6FA FF00FF7C
	v_mul_f32_dpp v92, v125, v92 quad_perm:[0,0,0,0] row_mask:0xf bank_mask:0xf// 0000000032D4: 0AB8B8FA FF00007D
	v_mul_f32_dpp v93, v125, v93 quad_perm:[1,1,1,1] row_mask:0xf bank_mask:0xf// 0000000032DC: 0ABABAFA FF00557D
	v_mul_f32_dpp v94, v125, v94 quad_perm:[2,2,2,2] row_mask:0xf bank_mask:0xf// 0000000032E4: 0ABCBCFA FF00AA7D
	v_mul_f32_dpp v95, v125, v95 quad_perm:[3,3,3,3] row_mask:0xf bank_mask:0xf// 0000000032EC: 0ABEBEFA FF00FF7D
	buffer_load_dwordx4 a[20:23], v24, s[16:19], 0 offen offset:1024// 0000000032F4: E05C1400 80841418
	v_mov_b32_e32 v48, v88                                     // 0000000032FC: 7E600358
	v_max3_f32 v48, v88, v89, v48                              // 000000003300: D1D30030 04C2B358
	v_max3_f32 v48, v90, v91, v48                              // 000000003308: D1D30030 04C2B75A
	v_max3_f32 v48, v92, v93, v48                              // 000000003310: D1D30030 04C2BB5C
	v_max3_f32 v48, v94, v95, v48                              // 000000003318: D1D30030 04C2BF5E
	ds_write_b32 v11, v48 offset:4224                          // 000000003320: D81A1080 0000300B
	buffer_load_dwordx4 a[24:27], v25, s[16:19], 0 offen       // 000000003328: E05C1000 80841819
	v_mul_u32_u24_dpp v38, v16, v51 row_newbcast:1 row_mask:0xf bank_mask:0xf// 000000003330: 104C66FA FF015110
	v_mul_u32_u24_dpp v39, v16, v51 row_newbcast:5 row_mask:0xf bank_mask:0xf// 000000003338: 104E66FA FF015510
	v_mul_u32_u24_dpp v40, v16, v51 row_newbcast:9 row_mask:0xf bank_mask:0xf// 000000003340: 105066FA FF015910
	v_mul_u32_u24_dpp v41, v16, v51 row_newbcast:13 row_mask:0xf bank_mask:0xf// 000000003348: 105266FA FF015D10
	v_add_u32_e32 v30, v38, v7                                 // 000000003350: 683C0F26
	v_add_u32_e32 v31, v39, v7                                 // 000000003354: 683E0F27
	v_add_u32_e32 v32, v40, v7                                 // 000000003358: 68400F28
	v_add_u32_e32 v33, v41, v7                                 // 00000000335C: 68420F29
	s_waitcnt lgkmcnt(0)                                       // 000000003360: BF8CC07F
	s_barrier                                                  // 000000003364: BF8A0000
	ds_read_b32 v64, v10 offset:4224                           // 000000003368: D86C1080 4000000A
	ds_read_b32 v65, v10 offset:4288                           // 000000003370: D86C10C0 4100000A
	ds_read_b32 v66, v10 offset:4352                           // 000000003378: D86C1100 4200000A
	ds_read_b32 v67, v10 offset:4416                           // 000000003380: D86C1140 4300000A
	ds_read_b32 v68, v10 offset:4480                           // 000000003388: D86C1180 4400000A
	ds_read_b32 v69, v10 offset:4544                           // 000000003390: D86C11C0 4500000A
	ds_read_b32 v70, v10 offset:4608                           // 000000003398: D86C1200 4600000A
	ds_read_b32 v71, v10 offset:4672                           // 0000000033A0: D86C1240 4700000A
	ds_read_b32 v72, v10 offset:4736                           // 0000000033A8: D86C1280 4800000A
	ds_read_b32 v73, v10 offset:4800                           // 0000000033B0: D86C12C0 4900000A
	ds_read_b32 v74, v10 offset:4864                           // 0000000033B8: D86C1300 4A00000A
	ds_read_b32 v75, v10 offset:4928                           // 0000000033C0: D86C1340 4B00000A
	ds_read_b32 v76, v10 offset:4992                           // 0000000033C8: D86C1380 4C00000A
	ds_read_b32 v77, v10 offset:5056                           // 0000000033D0: D86C13C0 4D00000A
	ds_read_b32 v78, v10 offset:5120                           // 0000000033D8: D86C1400 4E00000A
	ds_read_b32 v79, v10 offset:5184                           // 0000000033E0: D86C1440 4F00000A
	buffer_load_dwordx4 a[28:31], v25, s[16:19], 0 offen offset:1024// 0000000033E8: E05C1400 80841C19
	v_mul_f32_e32 v112, v49, v112                              // 0000000033F0: 0AE0E131
	v_mul_f32_e32 v113, v49, v113                              // 0000000033F4: 0AE2E331
	v_mul_f32_e32 v114, v49, v114                              // 0000000033F8: 0AE4E531
	v_mul_f32_e32 v115, v49, v115                              // 0000000033FC: 0AE6E731
	v_or_b32_dpp v104, v108, v104 row_shr:8 row_mask:0xf bank_mask:0xf bound_ctrl:1// 000000003400: 28D0D0FA FF09186C
	v_or_b32_dpp v105, v109, v105 row_shr:8 row_mask:0xf bank_mask:0xf bound_ctrl:1// 000000003408: 28D2D2FA FF09186D
	v_or_b32_dpp v106, v110, v106 row_shr:8 row_mask:0xf bank_mask:0xf bound_ctrl:1// 000000003410: 28D4D4FA FF09186E
	v_or_b32_dpp v107, v111, v107 row_shr:8 row_mask:0xf bank_mask:0xf bound_ctrl:1// 000000003418: 28D6D6FA FF09186F
	s_waitcnt lgkmcnt(0)                                       // 000000003420: BF8CC07F
	v_max3_f32 v48, v64, v65, v48                              // 000000003424: D1D30030 04C28340
	v_max3_f32 v48, v66, v67, v48                              // 00000000342C: D1D30030 04C28742
	v_max3_f32 v48, v68, v69, v48                              // 000000003434: D1D30030 04C28B44
	v_max3_f32 v48, v70, v71, v48                              // 00000000343C: D1D30030 04C28F46
	v_max3_f32 v48, v72, v73, v48                              // 000000003444: D1D30030 04C29348
	v_max3_f32 v48, v74, v75, v48                              // 00000000344C: D1D30030 04C2974A
	v_max3_f32 v48, v76, v77, v48                              // 000000003454: D1D30030 04C29B4C
	v_max3_f32 v48, v78, v79, v48                              // 00000000345C: D1D30030 04C29F4E
	buffer_load_dwordx4 a[64:67], v30, s[20:23], 0 offen       // 000000003464: E05C1000 8085401E
	v_cmp_eq_u32_e64 s[40:41], v52, v14                        // 00000000346C: D0CA0028 00021D34
	s_nop 1                                                    // 000000003474: BF800001
	v_mov_b32_dpp v38, v48 row_ror:8 row_mask:0xf bank_mask:0xf// 000000003478: 7E4C02FA FF012830
	v_max_f32_e32 v48, v48, v38                                // 000000003480: 16604D30
	v_max_f32_e32 v15, v48, v14                                // 000000003484: 161E1D30
	v_mul_f32_e32 v50, s64, v15                                // 000000003488: 0A641E40
	v_fma_f32 v88, v88, s64, -v50                              // 00000000348C: D1CB0058 84C88158
	v_fma_f32 v89, v89, s64, -v50                              // 000000003494: D1CB0059 84C88159
	v_fma_f32 v90, v90, s64, -v50                              // 00000000349C: D1CB005A 84C8815A
	v_fma_f32 v91, v91, s64, -v50                              // 0000000034A4: D1CB005B 84C8815B
	v_fma_f32 v92, v92, s64, -v50                              // 0000000034AC: D1CB005C 84C8815C
	v_fma_f32 v93, v93, s64, -v50                              // 0000000034B4: D1CB005D 84C8815D
	v_fma_f32 v94, v94, s64, -v50                              // 0000000034BC: D1CB005E 84C8815E
	v_fma_f32 v95, v95, s64, -v50                              // 0000000034C4: D1CB005F 84C8815F
	buffer_load_dwordx4 a[68:71], v31, s[20:23], 0 offen       // 0000000034CC: E05C1000 8085441F
	v_exp_f32_e32 v88, v88                                     // 0000000034D4: 7EB04158
	v_exp_f32_e32 v89, v89                                     // 0000000034D8: 7EB24159
	v_exp_f32_e32 v90, v90                                     // 0000000034DC: 7EB4415A
	v_exp_f32_e32 v91, v91                                     // 0000000034E0: 7EB6415B
	v_exp_f32_e32 v92, v92                                     // 0000000034E4: 7EB8415C
	v_exp_f32_e32 v93, v93                                     // 0000000034E8: 7EBA415D
	v_exp_f32_e32 v94, v94                                     // 0000000034EC: 7EBC415E
	v_exp_f32_e32 v95, v95                                     // 0000000034F0: 7EBE415F
	buffer_load_dwordx4 a[72:75], v32, s[20:23], 0 offen       // 0000000034F4: E05C1000 80854820
	v_mul_f32_dpp v116, v126, v88 quad_perm:[0,0,0,0] row_mask:0xf bank_mask:0xf// 0000000034FC: 0AE8B0FA FF00007E
	v_mul_f32_dpp v117, v126, v89 quad_perm:[1,1,1,1] row_mask:0xf bank_mask:0xf// 000000003504: 0AEAB2FA FF00557E
	v_mul_f32_dpp v118, v126, v90 quad_perm:[2,2,2,2] row_mask:0xf bank_mask:0xf// 00000000350C: 0AECB4FA FF00AA7E
	v_mul_f32_dpp v119, v126, v91 quad_perm:[3,3,3,3] row_mask:0xf bank_mask:0xf// 000000003514: 0AEEB6FA FF00FF7E
	v_mul_f32_dpp v120, v127, v92 quad_perm:[0,0,0,0] row_mask:0xf bank_mask:0xf// 00000000351C: 0AF0B8FA FF00007F
	v_mul_f32_dpp v121, v127, v93 quad_perm:[1,1,1,1] row_mask:0xf bank_mask:0xf// 000000003524: 0AF2BAFA FF00557F
	v_mul_f32_dpp v122, v127, v94 quad_perm:[2,2,2,2] row_mask:0xf bank_mask:0xf// 00000000352C: 0AF4BCFA FF00AA7F
	v_mul_f32_dpp v123, v127, v95 quad_perm:[3,3,3,3] row_mask:0xf bank_mask:0xf// 000000003534: 0AF6BEFA FF00FF7F
	v_mov_b32_e32 v48, 0x358637bd                              // 00000000353C: 7E6002FF 358637BD
	v_max3_f32 v48, |v116|, |v117|, v48                        // 000000003544: D1D30330 04C2EB74
	v_max3_f32 v48, |v118|, |v119|, v48                        // 00000000354C: D1D30330 04C2EF76
	v_max3_f32 v48, |v120|, |v121|, v48                        // 000000003554: D1D30330 04C2F378
	v_max3_f32 v48, |v122|, |v123|, v48                        // 00000000355C: D1D30330 04C2F77A
	buffer_load_dwordx4 a[76:79], v33, s[20:23], 0 offen       // 000000003564: E05C1000 80854C21
	ds_write_b32 v11, v48 offset:5248                          // 00000000356C: D81A1480 0000300B
	v_sub_f32_e32 v49, v14, v15                                // 000000003574: 04621F0E
	v_cndmask_b32_e64 v49, v49, 0, s[40:41]                    // 000000003578: D1000031 00A10131
	v_mov_b32_e32 v14, v15                                     // 000000003580: 7E1C030F
	v_mul_f32_e32 v49, s64, v49                                // 000000003584: 0A626240
	v_exp_f32_e32 v49, v49                                     // 000000003588: 7E624131
	s_waitcnt lgkmcnt(0)                                       // 00000000358C: BF8CC07F
	s_barrier                                                  // 000000003590: BF8A0000
	ds_read_b32 v64, v10 offset:5248                           // 000000003594: D86C1480 4000000A
	ds_read_b32 v65, v10 offset:5312                           // 00000000359C: D86C14C0 4100000A
	ds_read_b32 v66, v10 offset:5376                           // 0000000035A4: D86C1500 4200000A
	ds_read_b32 v67, v10 offset:5440                           // 0000000035AC: D86C1540 4300000A
	ds_read_b32 v68, v10 offset:5504                           // 0000000035B4: D86C1580 4400000A
	ds_read_b32 v69, v10 offset:5568                           // 0000000035BC: D86C15C0 4500000A
	ds_read_b32 v70, v10 offset:5632                           // 0000000035C4: D86C1600 4600000A
	ds_read_b32 v71, v10 offset:5696                           // 0000000035CC: D86C1640 4700000A
	ds_read_b32 v72, v10 offset:5760                           // 0000000035D4: D86C1680 4800000A
	ds_read_b32 v73, v10 offset:5824                           // 0000000035DC: D86C16C0 4900000A
	ds_read_b32 v74, v10 offset:5888                           // 0000000035E4: D86C1700 4A00000A
	ds_read_b32 v75, v10 offset:5952                           // 0000000035EC: D86C1740 4B00000A
	ds_read_b32 v76, v10 offset:6016                           // 0000000035F4: D86C1780 4C00000A
	ds_read_b32 v77, v10 offset:6080                           // 0000000035FC: D86C17C0 4D00000A
	ds_read_b32 v78, v10 offset:6144                           // 000000003604: D86C1800 4E00000A
	ds_read_b32 v79, v10 offset:6208                           // 00000000360C: D86C1840 4F00000A
	v_mul_f32_e32 v42, v49, v42                                // 000000003614: 0A545531
	v_mov_b32_e32 v43, v88                                     // 000000003618: 7E560358
	v_add_f32_e32 v43, v89, v43                                // 00000000361C: 02565759
	v_add_f32_e32 v43, v90, v43                                // 000000003620: 0256575A
	v_add_f32_e32 v43, v91, v43                                // 000000003624: 0256575B
	v_add_f32_e32 v43, v92, v43                                // 000000003628: 0256575C
	v_add_f32_e32 v43, v93, v43                                // 00000000362C: 0256575D
	v_add_f32_e32 v43, v94, v43                                // 000000003630: 0256575E
	v_add_f32_e32 v43, v95, v43                                // 000000003634: 0256575F
	v_add_f32_e32 v42, v43, v42                                // 000000003638: 0254552B
	s_waitcnt lgkmcnt(0)                                       // 00000000363C: BF8CC07F
	v_max3_f32 v48, |v64|, |v65|, v48                          // 000000003640: D1D30330 04C28340
	v_max3_f32 v48, |v66|, |v67|, v48                          // 000000003648: D1D30330 04C28742
	v_max3_f32 v48, |v68|, |v69|, v48                          // 000000003650: D1D30330 04C28B44
	v_max3_f32 v48, |v70|, |v71|, v48                          // 000000003658: D1D30330 04C28F46
	v_max3_f32 v48, |v72|, |v73|, v48                          // 000000003660: D1D30330 04C29348
	v_max3_f32 v48, |v74|, |v75|, v48                          // 000000003668: D1D30330 04C2974A
	v_max3_f32 v48, |v76|, |v77|, v48                          // 000000003670: D1D30330 04C29B4C
	v_max3_f32 v48, |v78|, |v79|, v48                          // 000000003678: D1D30330 04C29F4E
	s_nop 2                                                    // 000000003680: BF800002
	v_mov_b32_dpp v38, v48 row_ror:8 row_mask:0xf bank_mask:0xf// 000000003684: 7E4C02FA FF012830
	v_max_f32_e32 v48, v48, v38                                // 00000000368C: 16604D30
	v_rcp_f32_e32 v48, v48                                     // 000000003690: 7E604530
	s_nop 1                                                    // 000000003694: BF800001
	v_mul_f32_e32 v48, 0x42fe0000, v48                         // 000000003698: 0A6060FF 42FE0000
	v_mul_f32_e32 v88, v48, v116                               // 0000000036A0: 0AB0E930
	v_mul_f32_e32 v89, v48, v117                               // 0000000036A4: 0AB2EB30
	v_mul_f32_e32 v90, v48, v118                               // 0000000036A8: 0AB4ED30
	v_mul_f32_e32 v91, v48, v119                               // 0000000036AC: 0AB6EF30
	v_mul_f32_e32 v92, v48, v120                               // 0000000036B0: 0AB8F130
	v_mul_f32_e32 v93, v48, v121                               // 0000000036B4: 0ABAF330
	v_mul_f32_e32 v94, v48, v122                               // 0000000036B8: 0ABCF530
	v_mul_f32_e32 v95, v48, v123                               // 0000000036BC: 0ABEF730
	v_cvt_i32_f32_e32 v88, v88                                 // 0000000036C0: 7EB01158
	v_cvt_i32_f32_e32 v89, v89                                 // 0000000036C4: 7EB21159
	v_cvt_i32_f32_e32 v90, v90                                 // 0000000036C8: 7EB4115A
	v_cvt_i32_f32_e32 v91, v91                                 // 0000000036CC: 7EB6115B
	v_cvt_i32_f32_e32 v92, v92                                 // 0000000036D0: 7EB8115C
	v_cvt_i32_f32_e32 v93, v93                                 // 0000000036D4: 7EBA115D
	v_cvt_i32_f32_e32 v94, v94                                 // 0000000036D8: 7EBC115E
	v_cvt_i32_f32_e32 v95, v95                                 // 0000000036DC: 7EBE115F
	v_perm_b32 v88, v89, v88, s53                              // 0000000036E0: D1ED0058 00D6B159
	v_perm_b32 v88, v90, v88, s54                              // 0000000036E8: D1ED0058 00DAB15A
	v_perm_b32 v88, v91, v88, s55                              // 0000000036F0: D1ED0058 00DEB15B
	v_perm_b32 v89, v93, v92, s53                              // 0000000036F8: D1ED0059 00D6B95D
	v_perm_b32 v89, v94, v89, s54                              // 000000003700: D1ED0059 00DAB35E
	v_perm_b32 v89, v95, v89, s55                              // 000000003708: D1ED0059 00DEB35F
	ds_write_b32 v13, v88 offset:6272                          // 000000003710: D81A1880 0000580D
	ds_write_b32 v13, v89 offset:7296                          // 000000003718: D81A1C80 0000590D
	v_cvt_f32_i32_e32 v104, v104                               // 000000003720: 7ED00B68
	v_cvt_f32_i32_e32 v105, v105                               // 000000003724: 7ED20B69
	v_cvt_f32_i32_e32 v106, v106                               // 000000003728: 7ED40B6A
	v_cvt_f32_i32_e32 v107, v107                               // 00000000372C: 7ED60B6B
	v_mul_f32_e32 v104, v47, v104                              // 000000003730: 0AD0D12F
	v_mul_f32_e32 v105, v47, v105                              // 000000003734: 0AD2D32F
	v_mul_f32_e32 v106, v47, v106                              // 000000003738: 0AD4D52F
	v_mul_f32_e32 v107, v47, v107                              // 00000000373C: 0AD6D72F
	v_rcp_f32_e32 v47, v48                                     // 000000003740: 7E5E4530
	s_waitcnt lgkmcnt(0)                                       // 000000003744: BF8CC07F
	s_barrier                                                  // 000000003748: BF8A0000
	ds_read_b64 v[88:89], v12 offset:6272                      // 00000000374C: D8EC1880 5800000C
	ds_read_b64 v[90:91], v12 offset:6400                      // 000000003754: D8EC1900 5A00000C
	ds_read_b64 v[92:93], v12 offset:7296                      // 00000000375C: D8EC1C80 5C00000C
	ds_read_b64 v[94:95], v12 offset:7424                      // 000000003764: D8EC1D00 5E00000C
	v_add_f32_e32 v112, v112, v104                             // 00000000376C: 02E0D170
	v_add_f32_e32 v113, v113, v105                             // 000000003770: 02E2D371
	v_add_f32_e32 v114, v114, v106                             // 000000003774: 02E4D572
	v_add_f32_e32 v115, v115, v107                             // 000000003778: 02E6D773
	s_waitcnt lgkmcnt(3)                                       // 00000000377C: BF8CC37F
	v_mov_b32_dpp v96, v88 row_shl:8 row_mask:0xf bank_mask:0xf bound_ctrl:1// 000000003780: 7EC002FA FF090858
	v_and_b32_e32 v88, v88, v9                                 // 000000003788: 26B01358
	v_mov_b32_dpp v97, v89 row_shl:8 row_mask:0xf bank_mask:0xf bound_ctrl:1// 00000000378C: 7EC202FA FF090859
	v_and_b32_e32 v89, v89, v9                                 // 000000003794: 26B21359
	s_waitcnt lgkmcnt(2)                                       // 000000003798: BF8CC27F
	v_mov_b32_dpp v98, v90 row_shl:8 row_mask:0xf bank_mask:0xf bound_ctrl:1// 00000000379C: 7EC402FA FF09085A
	v_and_b32_e32 v90, v90, v9                                 // 0000000037A4: 26B4135A
	v_mov_b32_dpp v99, v91 row_shl:8 row_mask:0xf bank_mask:0xf bound_ctrl:1// 0000000037A8: 7EC602FA FF09085B
	v_and_b32_e32 v91, v91, v9                                 // 0000000037B0: 26B6135B
	s_waitcnt lgkmcnt(1)                                       // 0000000037B4: BF8CC17F
	v_mov_b32_dpp v100, v92 row_shl:8 row_mask:0xf bank_mask:0xf bound_ctrl:1// 0000000037B8: 7EC802FA FF09085C
	v_and_b32_e32 v92, v92, v9                                 // 0000000037C0: 26B8135C
	v_mov_b32_dpp v101, v93 row_shl:8 row_mask:0xf bank_mask:0xf bound_ctrl:1// 0000000037C4: 7ECA02FA FF09085D
	v_and_b32_e32 v93, v93, v9                                 // 0000000037CC: 26BA135D
	s_waitcnt lgkmcnt(0)                                       // 0000000037D0: BF8CC07F
	v_mov_b32_dpp v102, v94 row_shl:8 row_mask:0xf bank_mask:0xf bound_ctrl:1// 0000000037D4: 7ECC02FA FF09085E
	v_and_b32_e32 v94, v94, v9                                 // 0000000037DC: 26BC135E
	v_mov_b32_dpp v103, v95 row_shl:8 row_mask:0xf bank_mask:0xf bound_ctrl:1// 0000000037E0: 7ECE02FA FF09085F
	v_and_b32_e32 v95, v95, v9                                 // 0000000037E8: 26BE135F
	s_waitcnt vmcnt(15)                                        // 0000000037EC: BF8C0F7F
	v_mfma_i32_16x16x32_i8 v[104:107], a[96:97], v[88:89], 0   // 0000000037F0: D3D70068 0A02B160
	v_mfma_i32_16x16x32_i8 v[104:107], a[98:99], v[90:91], v[104:107]// 0000000037F8: D3D70068 0DA2B562
	buffer_load_dwordx4 a[80:83], v30, s[20:23], 0 offen offset:1024// 000000003800: E05C1400 8085501E
	v_mfma_i32_16x16x32_i8 v[104:107], a[100:101], v[92:93], v[104:107]// 000000003808: D3D70068 0DA2B964
	v_mfma_i32_16x16x32_i8 v[104:107], a[102:103], v[94:95], v[104:107]// 000000003810: D3D70068 0DA2BD66
	v_mfma_i32_16x16x32_i8 v[104:107], a[104:105], v[96:97], v[104:107]// 000000003818: D3D70068 0DA2C168
	v_mfma_i32_16x16x32_i8 v[104:107], a[106:107], v[98:99], v[104:107]// 000000003820: D3D70068 0DA2C56A
	buffer_load_dwordx4 a[84:87], v31, s[20:23], 0 offen offset:1024// 000000003828: E05C1400 8085541F
	v_mfma_i32_16x16x32_i8 v[104:107], a[108:109], v[100:101], v[104:107]// 000000003830: D3D70068 0DA2C96C
	v_mfma_i32_16x16x32_i8 v[104:107], a[110:111], v[102:103], v[104:107]// 000000003838: D3D70068 0DA2CD6E
	v_mfma_i32_16x16x32_i8 v[108:111], a[112:113], v[88:89], 0 // 000000003840: D3D7006C 0A02B170
	v_mfma_i32_16x16x32_i8 v[108:111], a[114:115], v[90:91], v[108:111]// 000000003848: D3D7006C 0DB2B572
	buffer_load_dwordx4 a[88:91], v32, s[20:23], 0 offen offset:1024// 000000003850: E05C1400 80855820
	v_mfma_i32_16x16x32_i8 v[108:111], a[116:117], v[92:93], v[108:111]// 000000003858: D3D7006C 0DB2B974
	v_mfma_i32_16x16x32_i8 v[108:111], a[118:119], v[94:95], v[108:111]// 000000003860: D3D7006C 0DB2BD76
	v_mfma_i32_16x16x32_i8 v[108:111], a[120:121], v[96:97], v[108:111]// 000000003868: D3D7006C 0DB2C178
	v_mfma_i32_16x16x32_i8 v[108:111], a[122:123], v[98:99], v[108:111]// 000000003870: D3D7006C 0DB2C57A
	buffer_load_dwordx4 a[92:95], v33, s[20:23], 0 offen offset:1024// 000000003878: E05C1400 80855C21
	v_mfma_i32_16x16x32_i8 v[108:111], a[124:125], v[100:101], v[108:111]// 000000003880: D3D7006C 0DB2C97C
	s_lshr_b32 s57, s70, 4                                     // 000000003888: 8F398446
	s_add_u32 s57, 48, s57                                     // 00000000388C: 803939B0
	v_mfma_i32_16x16x32_i8 v[108:111], a[126:127], v[102:103], v[108:111]// 000000003890: D3D7006C 0DB2CD7E
	s_cmp_ge_u32 s57, s73                                      // 000000003898: BF094939
	s_cselect_b32 s56, 0, s56                                  // 00000000389C: 85383880
	v_add_u32_e32 v1, s56, v1                                  // 0000000038A0: 68020238
	s_addk_i32 s70, 0x100                                      // 0000000038A4: B7460100
	s_cmp_lt_i32 s70, s71                                      // 0000000038A8: BF044746
	s_cbranch_scc0 label_05ED                                  // 0000000038AC: BF840001
	s_branch label_0208                                        // 0000000038B0: BF82FC1B

00000000000038b4 <label_05ED>:
	s_nop 0                                                    // 0000000038B4: BF800000
	s_nop 0                                                    // 0000000038B8: BF800000
	s_branch label_09D5                                        // 0000000038BC: BF8203E5

00000000000038c0 <label_05F0>:
	s_waitcnt vmcnt(8) lgkmcnt(0)                              // 0000000038C0: BF8C0078
	v_mul_u32_u24_dpp v38, v17, v51 row_newbcast:0 row_mask:0xf bank_mask:0xf// 0000000038C4: 104C66FA FF015011
	v_mul_u32_u24_dpp v39, v17, v51 row_newbcast:4 row_mask:0xf bank_mask:0xf// 0000000038CC: 104E66FA FF015411
	v_mul_u32_u24_dpp v40, v17, v51 row_newbcast:8 row_mask:0xf bank_mask:0xf// 0000000038D4: 105066FA FF015811
	v_mul_u32_u24_dpp v41, v17, v51 row_newbcast:12 row_mask:0xf bank_mask:0xf// 0000000038DC: 105266FA FF015C11
	v_add_u32_e32 v26, v38, v6                                 // 0000000038E4: 68340D26
	v_add_u32_e32 v27, v39, v6                                 // 0000000038E8: 68360D27
	v_add_u32_e32 v28, v40, v6                                 // 0000000038EC: 68380D28
	v_add_u32_e32 v29, v41, v6                                 // 0000000038F0: 683A0D29
	v_mul_u32_u24_dpp v38, v17, v61 quad_perm:[0,0,0,0] row_mask:0xf bank_mask:0xf// 0000000038F4: 104C7AFA FF000011
	v_add_u32_e32 v3, v38, v57                                 // 0000000038FC: 68067326
	v_mul_u32_u24_dpp v38, v17, v61 quad_perm:[0,0,0,0] row_mask:0xf bank_mask:0xf// 000000003900: 104C7AFA FF000011
	v_add_u32_e32 v54, v38, v58                                // 000000003908: 686C7526
	v_mfma_i32_16x16x32_i8 v[88:91], a[0:1], v[80:81], 0       // 00000000390C: D3D70058 0A02A100
	buffer_load_dwordx4 a[32:35], v26, s[16:19], 0 offen       // 000000003914: E05C1000 8084201A
	v_mfma_i32_16x16x32_i8 v[88:91], a[2:3], v[82:83], v[88:91]// 00000000391C: D3D70058 0D62A502
	v_mfma_i32_16x16x32_i8 v[88:91], a[4:5], v[84:85], v[88:91]// 000000003924: D3D70058 0D62A904
	buffer_load_dword v16, v1, s[24:27], 0 offen               // 00000000392C: E0501000 80061001
	v_mfma_i32_16x16x32_i8 v[88:91], a[6:7], v[86:87], v[88:91]// 000000003934: D3D70058 0D62AD06
	v_mfma_i32_16x16x32_i8 v[92:95], a[8:9], v[80:81], 0       // 00000000393C: D3D7005C 0A02A108
	buffer_load_dwordx4 a[36:39], v26, s[16:19], 0 offen offset:1024// 000000003944: E05C1400 8084241A
	v_mfma_i32_16x16x32_i8 v[92:95], a[10:11], v[82:83], v[92:95]// 00000000394C: D3D7005C 0D72A50A
	v_mfma_i32_16x16x32_i8 v[92:95], a[12:13], v[84:85], v[92:95]// 000000003954: D3D7005C 0D72A90C
	v_mfma_i32_16x16x32_i8 v[92:95], a[14:15], v[86:87], v[92:95]// 00000000395C: D3D7005C 0D72AD0E
	v_mfma_i32_16x16x32_i8 v[96:99], a[16:17], v[80:81], 0     // 000000003964: D3D70060 0A02A110
	buffer_load_dwordx4 a[40:43], v27, s[16:19], 0 offen       // 00000000396C: E05C1000 8084281B
	v_mfma_i32_16x16x32_i8 v[96:99], a[18:19], v[82:83], v[96:99]// 000000003974: D3D70060 0D82A512
	v_mfma_i32_16x16x32_i8 v[96:99], a[20:21], v[84:85], v[96:99]// 00000000397C: D3D70060 0D82A914
	v_mfma_i32_16x16x32_i8 v[96:99], a[22:23], v[86:87], v[96:99]// 000000003984: D3D70060 0D82AD16
	v_mfma_i32_16x16x32_i8 v[100:103], a[24:25], v[80:81], 0   // 00000000398C: D3D70064 0A02A118
	buffer_load_dwordx4 a[44:47], v27, s[16:19], 0 offen offset:1024// 000000003994: E05C1400 80842C1B
	v_mfma_i32_16x16x32_i8 v[100:103], a[26:27], v[82:83], v[100:103]// 00000000399C: D3D70064 0D92A51A
	v_mfma_i32_16x16x32_i8 v[100:103], a[28:29], v[84:85], v[100:103]// 0000000039A4: D3D70064 0D92A91C
	v_mfma_i32_16x16x32_i8 v[100:103], a[30:31], v[86:87], v[100:103]// 0000000039AC: D3D70064 0D92AD1E
	buffer_load_dword v45, v3, s[32:35], 0 offen               // 0000000039B4: E0501000 80082D03
	v_mov_b32_dpp v38, v44 row_shr:4 row_mask:0xf bank_mask:0xf// 0000000039BC: 7E4C02FA FF01142C
	v_mov_b32_dpp v39, v44 row_shl:4 row_mask:0xf bank_mask:0xf// 0000000039C4: 7E4E02FA FF01042C
	v_cndmask_b32_e64 v124, v44, v38, s[44:45]                 // 0000000039CC: D100007C 00B24D2C
	v_cndmask_b32_e64 v125, v39, v44, s[44:45]                 // 0000000039D4: D100007D 00B25927
	v_mov_b32_dpp v38, v55 row_shr:4 row_mask:0xf bank_mask:0xf// 0000000039DC: 7E4C02FA FF011437
	v_mov_b32_dpp v39, v55 row_shl:4 row_mask:0xf bank_mask:0xf// 0000000039E4: 7E4E02FA FF010437
	v_cndmask_b32_e64 v126, v55, v38, s[44:45]                 // 0000000039EC: D100007E 00B24D37
	v_cndmask_b32_e64 v127, v39, v55, s[44:45]                 // 0000000039F4: D100007F 00B26F27
	v_or_b32_dpp v88, v96, v88 row_shr:8 row_mask:0xf bank_mask:0xf bound_ctrl:1// 0000000039FC: 28B0B0FA FF091860
	v_or_b32_dpp v89, v97, v89 row_shr:8 row_mask:0xf bank_mask:0xf bound_ctrl:1// 000000003A04: 28B2B2FA FF091861
	v_or_b32_dpp v90, v98, v90 row_shr:8 row_mask:0xf bank_mask:0xf bound_ctrl:1// 000000003A0C: 28B4B4FA FF091862
	v_or_b32_dpp v91, v99, v91 row_shr:8 row_mask:0xf bank_mask:0xf bound_ctrl:1// 000000003A14: 28B6B6FA FF091863
	v_or_b32_dpp v92, v100, v92 row_shr:8 row_mask:0xf bank_mask:0xf bound_ctrl:1// 000000003A1C: 28B8B8FA FF091864
	v_or_b32_dpp v93, v101, v93 row_shr:8 row_mask:0xf bank_mask:0xf bound_ctrl:1// 000000003A24: 28BABAFA FF091865
	v_or_b32_dpp v94, v102, v94 row_shr:8 row_mask:0xf bank_mask:0xf bound_ctrl:1// 000000003A2C: 28BCBCFA FF091866
	v_or_b32_dpp v95, v103, v95 row_shr:8 row_mask:0xf bank_mask:0xf bound_ctrl:1// 000000003A34: 28BEBEFA FF091867
	buffer_load_dword v56, v54, s[36:39], 0 offen              // 000000003A3C: E0501000 80093836
	v_cvt_f32_i32_e32 v88, v88                                 // 000000003A44: 7EB00B58
	v_cvt_f32_i32_e32 v89, v89                                 // 000000003A48: 7EB20B59
	v_cvt_f32_i32_e32 v90, v90                                 // 000000003A4C: 7EB40B5A
	v_cvt_f32_i32_e32 v91, v91                                 // 000000003A50: 7EB60B5B
	v_cvt_f32_i32_e32 v92, v92                                 // 000000003A54: 7EB80B5C
	v_cvt_f32_i32_e32 v93, v93                                 // 000000003A58: 7EBA0B5D
	v_cvt_f32_i32_e32 v94, v94                                 // 000000003A5C: 7EBC0B5E
	v_cvt_f32_i32_e32 v95, v95                                 // 000000003A60: 7EBE0B5F
	v_mul_f32_e32 v88, v46, v88                                // 000000003A64: 0AB0B12E
	v_mul_f32_e32 v89, v46, v89                                // 000000003A68: 0AB2B32E
	v_mul_f32_e32 v90, v46, v90                                // 000000003A6C: 0AB4B52E
	v_mul_f32_e32 v91, v46, v91                                // 000000003A70: 0AB6B72E
	v_mul_f32_e32 v92, v46, v92                                // 000000003A74: 0AB8B92E
	v_mul_f32_e32 v93, v46, v93                                // 000000003A78: 0ABABB2E
	v_mul_f32_e32 v94, v46, v94                                // 000000003A7C: 0ABCBD2E
	v_mul_f32_e32 v95, v46, v95                                // 000000003A80: 0ABEBF2E
	buffer_load_dwordx4 a[48:51], v28, s[16:19], 0 offen       // 000000003A84: E05C1000 8084301C
	v_mul_f32_dpp v88, v124, v88 quad_perm:[0,0,0,0] row_mask:0xf bank_mask:0xf// 000000003A8C: 0AB0B0FA FF00007C
	v_mul_f32_dpp v89, v124, v89 quad_perm:[1,1,1,1] row_mask:0xf bank_mask:0xf// 000000003A94: 0AB2B2FA FF00557C
	v_mul_f32_dpp v90, v124, v90 quad_perm:[2,2,2,2] row_mask:0xf bank_mask:0xf// 000000003A9C: 0AB4B4FA FF00AA7C
	v_mul_f32_dpp v91, v124, v91 quad_perm:[3,3,3,3] row_mask:0xf bank_mask:0xf// 000000003AA4: 0AB6B6FA FF00FF7C
	v_mul_f32_dpp v92, v125, v92 quad_perm:[0,0,0,0] row_mask:0xf bank_mask:0xf// 000000003AAC: 0AB8B8FA FF00007D
	v_mul_f32_dpp v93, v125, v93 quad_perm:[1,1,1,1] row_mask:0xf bank_mask:0xf// 000000003AB4: 0ABABAFA FF00557D
	v_mul_f32_dpp v94, v125, v94 quad_perm:[2,2,2,2] row_mask:0xf bank_mask:0xf// 000000003ABC: 0ABCBCFA FF00AA7D
	v_mul_f32_dpp v95, v125, v95 quad_perm:[3,3,3,3] row_mask:0xf bank_mask:0xf// 000000003AC4: 0ABEBEFA FF00FF7D
	buffer_load_dwordx4 a[52:55], v28, s[16:19], 0 offen offset:1024// 000000003ACC: E05C1400 8084341C
	v_mov_b32_e32 v48, v88                                     // 000000003AD4: 7E600358
	v_max3_f32 v48, v88, v89, v48                              // 000000003AD8: D1D30030 04C2B358
	v_max3_f32 v48, v90, v91, v48                              // 000000003AE0: D1D30030 04C2B75A
	v_max3_f32 v48, v92, v93, v48                              // 000000003AE8: D1D30030 04C2BB5C
	v_max3_f32 v48, v94, v95, v48                              // 000000003AF0: D1D30030 04C2BF5E
	ds_write_b32 v11, v48 offset:4224                          // 000000003AF8: D81A1080 0000300B
	buffer_load_dwordx4 a[56:59], v29, s[16:19], 0 offen       // 000000003B00: E05C1000 8084381D
	v_mul_u32_u24_dpp v38, v17, v51 row_newbcast:1 row_mask:0xf bank_mask:0xf// 000000003B08: 104C66FA FF015111
	v_mul_u32_u24_dpp v39, v17, v51 row_newbcast:5 row_mask:0xf bank_mask:0xf// 000000003B10: 104E66FA FF015511
	v_mul_u32_u24_dpp v40, v17, v51 row_newbcast:9 row_mask:0xf bank_mask:0xf// 000000003B18: 105066FA FF015911
	v_mul_u32_u24_dpp v41, v17, v51 row_newbcast:13 row_mask:0xf bank_mask:0xf// 000000003B20: 105266FA FF015D11
	v_add_u32_e32 v34, v38, v7                                 // 000000003B28: 68440F26
	v_add_u32_e32 v35, v39, v7                                 // 000000003B2C: 68460F27
	v_add_u32_e32 v36, v40, v7                                 // 000000003B30: 68480F28
	v_add_u32_e32 v37, v41, v7                                 // 000000003B34: 684A0F29
	s_waitcnt lgkmcnt(0)                                       // 000000003B38: BF8CC07F
	s_barrier                                                  // 000000003B3C: BF8A0000
	ds_read_b32 v64, v10 offset:4224                           // 000000003B40: D86C1080 4000000A
	ds_read_b32 v65, v10 offset:4288                           // 000000003B48: D86C10C0 4100000A
	ds_read_b32 v66, v10 offset:4352                           // 000000003B50: D86C1100 4200000A
	ds_read_b32 v67, v10 offset:4416                           // 000000003B58: D86C1140 4300000A
	ds_read_b32 v68, v10 offset:4480                           // 000000003B60: D86C1180 4400000A
	ds_read_b32 v69, v10 offset:4544                           // 000000003B68: D86C11C0 4500000A
	ds_read_b32 v70, v10 offset:4608                           // 000000003B70: D86C1200 4600000A
	ds_read_b32 v71, v10 offset:4672                           // 000000003B78: D86C1240 4700000A
	ds_read_b32 v72, v10 offset:4736                           // 000000003B80: D86C1280 4800000A
	ds_read_b32 v73, v10 offset:4800                           // 000000003B88: D86C12C0 4900000A
	ds_read_b32 v74, v10 offset:4864                           // 000000003B90: D86C1300 4A00000A
	ds_read_b32 v75, v10 offset:4928                           // 000000003B98: D86C1340 4B00000A
	ds_read_b32 v76, v10 offset:4992                           // 000000003BA0: D86C1380 4C00000A
	ds_read_b32 v77, v10 offset:5056                           // 000000003BA8: D86C13C0 4D00000A
	ds_read_b32 v78, v10 offset:5120                           // 000000003BB0: D86C1400 4E00000A
	ds_read_b32 v79, v10 offset:5184                           // 000000003BB8: D86C1440 4F00000A
	buffer_load_dwordx4 a[60:63], v29, s[16:19], 0 offen offset:1024// 000000003BC0: E05C1400 80843C1D
	v_mul_f32_e32 v112, v49, v112                              // 000000003BC8: 0AE0E131
	v_mul_f32_e32 v113, v49, v113                              // 000000003BCC: 0AE2E331
	v_mul_f32_e32 v114, v49, v114                              // 000000003BD0: 0AE4E531
	v_mul_f32_e32 v115, v49, v115                              // 000000003BD4: 0AE6E731
	v_or_b32_dpp v104, v108, v104 row_shr:8 row_mask:0xf bank_mask:0xf bound_ctrl:1// 000000003BD8: 28D0D0FA FF09186C
	v_or_b32_dpp v105, v109, v105 row_shr:8 row_mask:0xf bank_mask:0xf bound_ctrl:1// 000000003BE0: 28D2D2FA FF09186D
	v_or_b32_dpp v106, v110, v106 row_shr:8 row_mask:0xf bank_mask:0xf bound_ctrl:1// 000000003BE8: 28D4D4FA FF09186E
	v_or_b32_dpp v107, v111, v107 row_shr:8 row_mask:0xf bank_mask:0xf bound_ctrl:1// 000000003BF0: 28D6D6FA FF09186F
	s_waitcnt lgkmcnt(0)                                       // 000000003BF8: BF8CC07F
	v_max3_f32 v48, v64, v65, v48                              // 000000003BFC: D1D30030 04C28340
	v_max3_f32 v48, v66, v67, v48                              // 000000003C04: D1D30030 04C28742
	v_max3_f32 v48, v68, v69, v48                              // 000000003C0C: D1D30030 04C28B44
	v_max3_f32 v48, v70, v71, v48                              // 000000003C14: D1D30030 04C28F46
	v_max3_f32 v48, v72, v73, v48                              // 000000003C1C: D1D30030 04C29348
	v_max3_f32 v48, v74, v75, v48                              // 000000003C24: D1D30030 04C2974A
	v_max3_f32 v48, v76, v77, v48                              // 000000003C2C: D1D30030 04C29B4C
	v_max3_f32 v48, v78, v79, v48                              // 000000003C34: D1D30030 04C29F4E
	buffer_load_dwordx4 a[96:99], v34, s[20:23], 0 offen       // 000000003C3C: E05C1000 80856022
	v_cmp_eq_u32_e64 s[40:41], v52, v14                        // 000000003C44: D0CA0028 00021D34
	s_nop 1                                                    // 000000003C4C: BF800001
	v_mov_b32_dpp v38, v48 row_ror:8 row_mask:0xf bank_mask:0xf// 000000003C50: 7E4C02FA FF012830
	v_max_f32_e32 v48, v48, v38                                // 000000003C58: 16604D30
	v_max_f32_e32 v15, v48, v14                                // 000000003C5C: 161E1D30
	v_mul_f32_e32 v50, s64, v15                                // 000000003C60: 0A641E40
	v_fma_f32 v88, v88, s64, -v50                              // 000000003C64: D1CB0058 84C88158
	v_fma_f32 v89, v89, s64, -v50                              // 000000003C6C: D1CB0059 84C88159
	v_fma_f32 v90, v90, s64, -v50                              // 000000003C74: D1CB005A 84C8815A
	v_fma_f32 v91, v91, s64, -v50                              // 000000003C7C: D1CB005B 84C8815B
	v_fma_f32 v92, v92, s64, -v50                              // 000000003C84: D1CB005C 84C8815C
	v_fma_f32 v93, v93, s64, -v50                              // 000000003C8C: D1CB005D 84C8815D
	v_fma_f32 v94, v94, s64, -v50                              // 000000003C94: D1CB005E 84C8815E
	v_fma_f32 v95, v95, s64, -v50                              // 000000003C9C: D1CB005F 84C8815F
	buffer_load_dwordx4 a[100:103], v35, s[20:23], 0 offen     // 000000003CA4: E05C1000 80856423
	v_exp_f32_e32 v88, v88                                     // 000000003CAC: 7EB04158
	v_exp_f32_e32 v89, v89                                     // 000000003CB0: 7EB24159
	v_exp_f32_e32 v90, v90                                     // 000000003CB4: 7EB4415A
	v_exp_f32_e32 v91, v91                                     // 000000003CB8: 7EB6415B
	v_exp_f32_e32 v92, v92                                     // 000000003CBC: 7EB8415C
	v_exp_f32_e32 v93, v93                                     // 000000003CC0: 7EBA415D
	v_exp_f32_e32 v94, v94                                     // 000000003CC4: 7EBC415E
	v_exp_f32_e32 v95, v95                                     // 000000003CC8: 7EBE415F
	buffer_load_dwordx4 a[104:107], v36, s[20:23], 0 offen     // 000000003CCC: E05C1000 80856824
	v_mul_f32_dpp v116, v126, v88 quad_perm:[0,0,0,0] row_mask:0xf bank_mask:0xf// 000000003CD4: 0AE8B0FA FF00007E
	v_mul_f32_dpp v117, v126, v89 quad_perm:[1,1,1,1] row_mask:0xf bank_mask:0xf// 000000003CDC: 0AEAB2FA FF00557E
	v_mul_f32_dpp v118, v126, v90 quad_perm:[2,2,2,2] row_mask:0xf bank_mask:0xf// 000000003CE4: 0AECB4FA FF00AA7E
	v_mul_f32_dpp v119, v126, v91 quad_perm:[3,3,3,3] row_mask:0xf bank_mask:0xf// 000000003CEC: 0AEEB6FA FF00FF7E
	v_mul_f32_dpp v120, v127, v92 quad_perm:[0,0,0,0] row_mask:0xf bank_mask:0xf// 000000003CF4: 0AF0B8FA FF00007F
	v_mul_f32_dpp v121, v127, v93 quad_perm:[1,1,1,1] row_mask:0xf bank_mask:0xf// 000000003CFC: 0AF2BAFA FF00557F
	v_mul_f32_dpp v122, v127, v94 quad_perm:[2,2,2,2] row_mask:0xf bank_mask:0xf// 000000003D04: 0AF4BCFA FF00AA7F
	v_mul_f32_dpp v123, v127, v95 quad_perm:[3,3,3,3] row_mask:0xf bank_mask:0xf// 000000003D0C: 0AF6BEFA FF00FF7F
	v_mov_b32_e32 v48, 0x358637bd                              // 000000003D14: 7E6002FF 358637BD
	v_max3_f32 v48, |v116|, |v117|, v48                        // 000000003D1C: D1D30330 04C2EB74
	v_max3_f32 v48, |v118|, |v119|, v48                        // 000000003D24: D1D30330 04C2EF76
	v_max3_f32 v48, |v120|, |v121|, v48                        // 000000003D2C: D1D30330 04C2F378
	v_max3_f32 v48, |v122|, |v123|, v48                        // 000000003D34: D1D30330 04C2F77A
	buffer_load_dwordx4 a[108:111], v37, s[20:23], 0 offen     // 000000003D3C: E05C1000 80856C25
	ds_write_b32 v11, v48 offset:5248                          // 000000003D44: D81A1480 0000300B
	v_sub_f32_e32 v49, v14, v15                                // 000000003D4C: 04621F0E
	v_cndmask_b32_e64 v49, v49, 0, s[40:41]                    // 000000003D50: D1000031 00A10131
	v_mov_b32_e32 v14, v15                                     // 000000003D58: 7E1C030F
	v_mul_f32_e32 v49, s64, v49                                // 000000003D5C: 0A626240
	v_exp_f32_e32 v49, v49                                     // 000000003D60: 7E624131
	s_waitcnt lgkmcnt(0)                                       // 000000003D64: BF8CC07F
	s_barrier                                                  // 000000003D68: BF8A0000
	ds_read_b32 v64, v10 offset:5248                           // 000000003D6C: D86C1480 4000000A
	ds_read_b32 v65, v10 offset:5312                           // 000000003D74: D86C14C0 4100000A
	ds_read_b32 v66, v10 offset:5376                           // 000000003D7C: D86C1500 4200000A
	ds_read_b32 v67, v10 offset:5440                           // 000000003D84: D86C1540 4300000A
	ds_read_b32 v68, v10 offset:5504                           // 000000003D8C: D86C1580 4400000A
	ds_read_b32 v69, v10 offset:5568                           // 000000003D94: D86C15C0 4500000A
	ds_read_b32 v70, v10 offset:5632                           // 000000003D9C: D86C1600 4600000A
	ds_read_b32 v71, v10 offset:5696                           // 000000003DA4: D86C1640 4700000A
	ds_read_b32 v72, v10 offset:5760                           // 000000003DAC: D86C1680 4800000A
	ds_read_b32 v73, v10 offset:5824                           // 000000003DB4: D86C16C0 4900000A
	ds_read_b32 v74, v10 offset:5888                           // 000000003DBC: D86C1700 4A00000A
	ds_read_b32 v75, v10 offset:5952                           // 000000003DC4: D86C1740 4B00000A
	ds_read_b32 v76, v10 offset:6016                           // 000000003DCC: D86C1780 4C00000A
	ds_read_b32 v77, v10 offset:6080                           // 000000003DD4: D86C17C0 4D00000A
	ds_read_b32 v78, v10 offset:6144                           // 000000003DDC: D86C1800 4E00000A
	ds_read_b32 v79, v10 offset:6208                           // 000000003DE4: D86C1840 4F00000A
	v_mul_f32_e32 v42, v49, v42                                // 000000003DEC: 0A545531
	v_mov_b32_e32 v43, v88                                     // 000000003DF0: 7E560358
	v_add_f32_e32 v43, v89, v43                                // 000000003DF4: 02565759
	v_add_f32_e32 v43, v90, v43                                // 000000003DF8: 0256575A
	v_add_f32_e32 v43, v91, v43                                // 000000003DFC: 0256575B
	v_add_f32_e32 v43, v92, v43                                // 000000003E00: 0256575C
	v_add_f32_e32 v43, v93, v43                                // 000000003E04: 0256575D
	v_add_f32_e32 v43, v94, v43                                // 000000003E08: 0256575E
	v_add_f32_e32 v43, v95, v43                                // 000000003E0C: 0256575F
	v_add_f32_e32 v42, v43, v42                                // 000000003E10: 0254552B
	s_waitcnt lgkmcnt(0)                                       // 000000003E14: BF8CC07F
	v_max3_f32 v48, |v64|, |v65|, v48                          // 000000003E18: D1D30330 04C28340
	v_max3_f32 v48, |v66|, |v67|, v48                          // 000000003E20: D1D30330 04C28742
	v_max3_f32 v48, |v68|, |v69|, v48                          // 000000003E28: D1D30330 04C28B44
	v_max3_f32 v48, |v70|, |v71|, v48                          // 000000003E30: D1D30330 04C28F46
	v_max3_f32 v48, |v72|, |v73|, v48                          // 000000003E38: D1D30330 04C29348
	v_max3_f32 v48, |v74|, |v75|, v48                          // 000000003E40: D1D30330 04C2974A
	v_max3_f32 v48, |v76|, |v77|, v48                          // 000000003E48: D1D30330 04C29B4C
	v_max3_f32 v48, |v78|, |v79|, v48                          // 000000003E50: D1D30330 04C29F4E
	s_nop 2                                                    // 000000003E58: BF800002
	v_mov_b32_dpp v38, v48 row_ror:8 row_mask:0xf bank_mask:0xf// 000000003E5C: 7E4C02FA FF012830
	v_max_f32_e32 v48, v48, v38                                // 000000003E64: 16604D30
	v_rcp_f32_e32 v48, v48                                     // 000000003E68: 7E604530
	s_nop 1                                                    // 000000003E6C: BF800001
	v_mul_f32_e32 v48, 0x42fe0000, v48                         // 000000003E70: 0A6060FF 42FE0000
	v_mul_f32_e32 v88, v48, v116                               // 000000003E78: 0AB0E930
	v_mul_f32_e32 v89, v48, v117                               // 000000003E7C: 0AB2EB30
	v_mul_f32_e32 v90, v48, v118                               // 000000003E80: 0AB4ED30
	v_mul_f32_e32 v91, v48, v119                               // 000000003E84: 0AB6EF30
	v_mul_f32_e32 v92, v48, v120                               // 000000003E88: 0AB8F130
	v_mul_f32_e32 v93, v48, v121                               // 000000003E8C: 0ABAF330
	v_mul_f32_e32 v94, v48, v122                               // 000000003E90: 0ABCF530
	v_mul_f32_e32 v95, v48, v123                               // 000000003E94: 0ABEF730
	v_cvt_i32_f32_e32 v88, v88                                 // 000000003E98: 7EB01158
	v_cvt_i32_f32_e32 v89, v89                                 // 000000003E9C: 7EB21159
	v_cvt_i32_f32_e32 v90, v90                                 // 000000003EA0: 7EB4115A
	v_cvt_i32_f32_e32 v91, v91                                 // 000000003EA4: 7EB6115B
	v_cvt_i32_f32_e32 v92, v92                                 // 000000003EA8: 7EB8115C
	v_cvt_i32_f32_e32 v93, v93                                 // 000000003EAC: 7EBA115D
	v_cvt_i32_f32_e32 v94, v94                                 // 000000003EB0: 7EBC115E
	v_cvt_i32_f32_e32 v95, v95                                 // 000000003EB4: 7EBE115F
	v_perm_b32 v88, v89, v88, s53                              // 000000003EB8: D1ED0058 00D6B159
	v_perm_b32 v88, v90, v88, s54                              // 000000003EC0: D1ED0058 00DAB15A
	v_perm_b32 v88, v91, v88, s55                              // 000000003EC8: D1ED0058 00DEB15B
	v_perm_b32 v89, v93, v92, s53                              // 000000003ED0: D1ED0059 00D6B95D
	v_perm_b32 v89, v94, v89, s54                              // 000000003ED8: D1ED0059 00DAB35E
	v_perm_b32 v89, v95, v89, s55                              // 000000003EE0: D1ED0059 00DEB35F
	ds_write_b32 v13, v88 offset:6272                          // 000000003EE8: D81A1880 0000580D
	ds_write_b32 v13, v89 offset:7296                          // 000000003EF0: D81A1C80 0000590D
	v_cvt_f32_i32_e32 v104, v104                               // 000000003EF8: 7ED00B68
	v_cvt_f32_i32_e32 v105, v105                               // 000000003EFC: 7ED20B69
	v_cvt_f32_i32_e32 v106, v106                               // 000000003F00: 7ED40B6A
	v_cvt_f32_i32_e32 v107, v107                               // 000000003F04: 7ED60B6B
	v_mul_f32_e32 v104, v47, v104                              // 000000003F08: 0AD0D12F
	v_mul_f32_e32 v105, v47, v105                              // 000000003F0C: 0AD2D32F
	v_mul_f32_e32 v106, v47, v106                              // 000000003F10: 0AD4D52F
	v_mul_f32_e32 v107, v47, v107                              // 000000003F14: 0AD6D72F
	v_rcp_f32_e32 v47, v48                                     // 000000003F18: 7E5E4530
	s_waitcnt lgkmcnt(0)                                       // 000000003F1C: BF8CC07F
	s_barrier                                                  // 000000003F20: BF8A0000
	ds_read_b64 v[88:89], v12 offset:6272                      // 000000003F24: D8EC1880 5800000C
	ds_read_b64 v[90:91], v12 offset:6400                      // 000000003F2C: D8EC1900 5A00000C
	ds_read_b64 v[92:93], v12 offset:7296                      // 000000003F34: D8EC1C80 5C00000C
	ds_read_b64 v[94:95], v12 offset:7424                      // 000000003F3C: D8EC1D00 5E00000C
	v_add_f32_e32 v112, v112, v104                             // 000000003F44: 02E0D170
	v_add_f32_e32 v113, v113, v105                             // 000000003F48: 02E2D371
	v_add_f32_e32 v114, v114, v106                             // 000000003F4C: 02E4D572
	v_add_f32_e32 v115, v115, v107                             // 000000003F50: 02E6D773
	s_waitcnt lgkmcnt(3)                                       // 000000003F54: BF8CC37F
	v_mov_b32_dpp v96, v88 row_shl:8 row_mask:0xf bank_mask:0xf bound_ctrl:1// 000000003F58: 7EC002FA FF090858
	v_and_b32_e32 v88, v88, v9                                 // 000000003F60: 26B01358
	v_mov_b32_dpp v97, v89 row_shl:8 row_mask:0xf bank_mask:0xf bound_ctrl:1// 000000003F64: 7EC202FA FF090859
	v_and_b32_e32 v89, v89, v9                                 // 000000003F6C: 26B21359
	s_waitcnt lgkmcnt(2)                                       // 000000003F70: BF8CC27F
	v_mov_b32_dpp v98, v90 row_shl:8 row_mask:0xf bank_mask:0xf bound_ctrl:1// 000000003F74: 7EC402FA FF09085A
	v_and_b32_e32 v90, v90, v9                                 // 000000003F7C: 26B4135A
	v_mov_b32_dpp v99, v91 row_shl:8 row_mask:0xf bank_mask:0xf bound_ctrl:1// 000000003F80: 7EC602FA FF09085B
	v_and_b32_e32 v91, v91, v9                                 // 000000003F88: 26B6135B
	s_waitcnt lgkmcnt(1)                                       // 000000003F8C: BF8CC17F
	v_mov_b32_dpp v100, v92 row_shl:8 row_mask:0xf bank_mask:0xf bound_ctrl:1// 000000003F90: 7EC802FA FF09085C
	v_and_b32_e32 v92, v92, v9                                 // 000000003F98: 26B8135C
	v_mov_b32_dpp v101, v93 row_shl:8 row_mask:0xf bank_mask:0xf bound_ctrl:1// 000000003F9C: 7ECA02FA FF09085D
	v_and_b32_e32 v93, v93, v9                                 // 000000003FA4: 26BA135D
	s_waitcnt lgkmcnt(0)                                       // 000000003FA8: BF8CC07F
	v_mov_b32_dpp v102, v94 row_shl:8 row_mask:0xf bank_mask:0xf bound_ctrl:1// 000000003FAC: 7ECC02FA FF09085E
	v_and_b32_e32 v94, v94, v9                                 // 000000003FB4: 26BC135E
	v_mov_b32_dpp v103, v95 row_shl:8 row_mask:0xf bank_mask:0xf bound_ctrl:1// 000000003FB8: 7ECE02FA FF09085F
	v_and_b32_e32 v95, v95, v9                                 // 000000003FC0: 26BE135F
	s_waitcnt vmcnt(15)                                        // 000000003FC4: BF8C0F7F
	v_mfma_i32_16x16x32_i8 v[104:107], a[64:65], v[88:89], 0   // 000000003FC8: D3D70068 0A02B140
	buffer_load_dwordx4 a[112:115], v34, s[20:23], 0 offen offset:1024// 000000003FD0: E05C1400 80857022
	v_mfma_i32_16x16x32_i8 v[104:107], a[66:67], v[90:91], v[104:107]// 000000003FD8: D3D70068 0DA2B542
	v_mfma_i32_16x16x32_i8 v[104:107], a[68:69], v[92:93], v[104:107]// 000000003FE0: D3D70068 0DA2B944
	v_mfma_i32_16x16x32_i8 v[104:107], a[70:71], v[94:95], v[104:107]// 000000003FE8: D3D70068 0DA2BD46
	v_mfma_i32_16x16x32_i8 v[104:107], a[72:73], v[96:97], v[104:107]// 000000003FF0: D3D70068 0DA2C148
	buffer_load_dwordx4 a[116:119], v35, s[20:23], 0 offen offset:1024// 000000003FF8: E05C1400 80857423
	v_mfma_i32_16x16x32_i8 v[104:107], a[74:75], v[98:99], v[104:107]// 000000004000: D3D70068 0DA2C54A
	v_mfma_i32_16x16x32_i8 v[104:107], a[76:77], v[100:101], v[104:107]// 000000004008: D3D70068 0DA2C94C
	v_mfma_i32_16x16x32_i8 v[104:107], a[78:79], v[102:103], v[104:107]// 000000004010: D3D70068 0DA2CD4E
	v_mfma_i32_16x16x32_i8 v[108:111], a[80:81], v[88:89], 0   // 000000004018: D3D7006C 0A02B150
	buffer_load_dwordx4 a[120:123], v36, s[20:23], 0 offen offset:1024// 000000004020: E05C1400 80857824
	v_mfma_i32_16x16x32_i8 v[108:111], a[82:83], v[90:91], v[108:111]// 000000004028: D3D7006C 0DB2B552
	v_mfma_i32_16x16x32_i8 v[108:111], a[84:85], v[92:93], v[108:111]// 000000004030: D3D7006C 0DB2B954
	v_mfma_i32_16x16x32_i8 v[108:111], a[86:87], v[94:95], v[108:111]// 000000004038: D3D7006C 0DB2BD56
	v_mfma_i32_16x16x32_i8 v[108:111], a[88:89], v[96:97], v[108:111]// 000000004040: D3D7006C 0DB2C158
	buffer_load_dwordx4 a[124:127], v37, s[20:23], 0 offen offset:1024// 000000004048: E05C1400 80857C25
	v_mfma_i32_16x16x32_i8 v[108:111], a[90:91], v[98:99], v[108:111]// 000000004050: D3D7006C 0DB2C55A
	v_mfma_i32_16x16x32_i8 v[108:111], a[92:93], v[100:101], v[108:111]// 000000004058: D3D7006C 0DB2C95C
	s_lshr_b32 s57, s70, 4                                     // 000000004060: 8F398446
	s_add_u32 s57, 48, s57                                     // 000000004064: 803939B0
	v_mfma_i32_16x16x32_i8 v[108:111], a[94:95], v[102:103], v[108:111]// 000000004068: D3D7006C 0DB2CD5E
	s_cmp_ge_u32 s57, s73                                      // 000000004070: BF094939
	s_cselect_b32 s56, 0, s56                                  // 000000004074: 85383880
	v_add_u32_e32 v1, s56, v1                                  // 000000004078: 68020238
	s_addk_i32 s70, 0x100                                      // 00000000407C: B7460100
	s_cmp_lt_i32 s70, s71                                      // 000000004080: BF044746
	s_cbranch_scc0 label_05ED                                  // 000000004084: BF84FE0B
	s_waitcnt vmcnt(8) lgkmcnt(0)                              // 000000004088: BF8C0078
	v_mul_u32_u24_dpp v38, v16, v51 row_newbcast:0 row_mask:0xf bank_mask:0xf// 00000000408C: 104C66FA FF015010
	v_mul_u32_u24_dpp v39, v16, v51 row_newbcast:4 row_mask:0xf bank_mask:0xf// 000000004094: 104E66FA FF015410
	v_mul_u32_u24_dpp v40, v16, v51 row_newbcast:8 row_mask:0xf bank_mask:0xf// 00000000409C: 105066FA FF015810
	v_mul_u32_u24_dpp v41, v16, v51 row_newbcast:12 row_mask:0xf bank_mask:0xf// 0000000040A4: 105266FA FF015C10
	v_add_u32_e32 v22, v38, v6                                 // 0000000040AC: 682C0D26
	v_add_u32_e32 v23, v39, v6                                 // 0000000040B0: 682E0D27
	v_add_u32_e32 v24, v40, v6                                 // 0000000040B4: 68300D28
	v_add_u32_e32 v25, v41, v6                                 // 0000000040B8: 68320D29
	v_mul_u32_u24_dpp v38, v16, v61 quad_perm:[0,0,0,0] row_mask:0xf bank_mask:0xf// 0000000040BC: 104C7AFA FF000010
	v_add_u32_e32 v2, v38, v57                                 // 0000000040C4: 68047326
	v_mul_u32_u24_dpp v38, v16, v61 quad_perm:[0,0,0,0] row_mask:0xf bank_mask:0xf// 0000000040C8: 104C7AFA FF000010
	v_add_u32_e32 v53, v38, v58                                // 0000000040D0: 686A7526
	v_mfma_i32_16x16x32_i8 v[88:91], a[32:33], v[80:81], 0     // 0000000040D4: D3D70058 0A02A120
	buffer_load_dwordx4 a[0:3], v22, s[16:19], 0 offen         // 0000000040DC: E05C1000 80840016
	v_mfma_i32_16x16x32_i8 v[88:91], a[34:35], v[82:83], v[88:91]// 0000000040E4: D3D70058 0D62A522
	v_mfma_i32_16x16x32_i8 v[88:91], a[36:37], v[84:85], v[88:91]// 0000000040EC: D3D70058 0D62A924
	buffer_load_dword v17, v1, s[24:27], 0 offen               // 0000000040F4: E0501000 80061101
	v_mfma_i32_16x16x32_i8 v[88:91], a[38:39], v[86:87], v[88:91]// 0000000040FC: D3D70058 0D62AD26
	v_mfma_i32_16x16x32_i8 v[92:95], a[40:41], v[80:81], 0     // 000000004104: D3D7005C 0A02A128
	buffer_load_dwordx4 a[4:7], v22, s[16:19], 0 offen offset:1024// 00000000410C: E05C1400 80840416
	v_mfma_i32_16x16x32_i8 v[92:95], a[42:43], v[82:83], v[92:95]// 000000004114: D3D7005C 0D72A52A
	v_mfma_i32_16x16x32_i8 v[92:95], a[44:45], v[84:85], v[92:95]// 00000000411C: D3D7005C 0D72A92C
	v_mfma_i32_16x16x32_i8 v[92:95], a[46:47], v[86:87], v[92:95]// 000000004124: D3D7005C 0D72AD2E
	v_mfma_i32_16x16x32_i8 v[96:99], a[48:49], v[80:81], 0     // 00000000412C: D3D70060 0A02A130
	buffer_load_dwordx4 a[8:11], v23, s[16:19], 0 offen        // 000000004134: E05C1000 80840817
	v_mfma_i32_16x16x32_i8 v[96:99], a[50:51], v[82:83], v[96:99]// 00000000413C: D3D70060 0D82A532
	v_mfma_i32_16x16x32_i8 v[96:99], a[52:53], v[84:85], v[96:99]// 000000004144: D3D70060 0D82A934
	v_mfma_i32_16x16x32_i8 v[96:99], a[54:55], v[86:87], v[96:99]// 00000000414C: D3D70060 0D82AD36
	v_mfma_i32_16x16x32_i8 v[100:103], a[56:57], v[80:81], 0   // 000000004154: D3D70064 0A02A138
	buffer_load_dwordx4 a[12:15], v23, s[16:19], 0 offen offset:1024// 00000000415C: E05C1400 80840C17
	v_mfma_i32_16x16x32_i8 v[100:103], a[58:59], v[82:83], v[100:103]// 000000004164: D3D70064 0D92A53A
	v_mfma_i32_16x16x32_i8 v[100:103], a[60:61], v[84:85], v[100:103]// 00000000416C: D3D70064 0D92A93C
	v_mfma_i32_16x16x32_i8 v[100:103], a[62:63], v[86:87], v[100:103]// 000000004174: D3D70064 0D92AD3E
	buffer_load_dword v44, v2, s[32:35], 0 offen               // 00000000417C: E0501000 80082C02
	v_mov_b32_dpp v38, v45 row_shr:4 row_mask:0xf bank_mask:0xf// 000000004184: 7E4C02FA FF01142D
	v_mov_b32_dpp v39, v45 row_shl:4 row_mask:0xf bank_mask:0xf// 00000000418C: 7E4E02FA FF01042D
	v_cndmask_b32_e64 v124, v45, v38, s[44:45]                 // 000000004194: D100007C 00B24D2D
	v_cndmask_b32_e64 v125, v39, v45, s[44:45]                 // 00000000419C: D100007D 00B25B27
	v_mov_b32_dpp v38, v56 row_shr:4 row_mask:0xf bank_mask:0xf// 0000000041A4: 7E4C02FA FF011438
	v_mov_b32_dpp v39, v56 row_shl:4 row_mask:0xf bank_mask:0xf// 0000000041AC: 7E4E02FA FF010438
	v_cndmask_b32_e64 v126, v56, v38, s[44:45]                 // 0000000041B4: D100007E 00B24D38
	v_cndmask_b32_e64 v127, v39, v56, s[44:45]                 // 0000000041BC: D100007F 00B27127
	v_or_b32_dpp v88, v96, v88 row_shr:8 row_mask:0xf bank_mask:0xf bound_ctrl:1// 0000000041C4: 28B0B0FA FF091860
	v_or_b32_dpp v89, v97, v89 row_shr:8 row_mask:0xf bank_mask:0xf bound_ctrl:1// 0000000041CC: 28B2B2FA FF091861
	v_or_b32_dpp v90, v98, v90 row_shr:8 row_mask:0xf bank_mask:0xf bound_ctrl:1// 0000000041D4: 28B4B4FA FF091862
	v_or_b32_dpp v91, v99, v91 row_shr:8 row_mask:0xf bank_mask:0xf bound_ctrl:1// 0000000041DC: 28B6B6FA FF091863
	v_or_b32_dpp v92, v100, v92 row_shr:8 row_mask:0xf bank_mask:0xf bound_ctrl:1// 0000000041E4: 28B8B8FA FF091864
	v_or_b32_dpp v93, v101, v93 row_shr:8 row_mask:0xf bank_mask:0xf bound_ctrl:1// 0000000041EC: 28BABAFA FF091865
	v_or_b32_dpp v94, v102, v94 row_shr:8 row_mask:0xf bank_mask:0xf bound_ctrl:1// 0000000041F4: 28BCBCFA FF091866
	v_or_b32_dpp v95, v103, v95 row_shr:8 row_mask:0xf bank_mask:0xf bound_ctrl:1// 0000000041FC: 28BEBEFA FF091867
	buffer_load_dword v55, v53, s[36:39], 0 offen              // 000000004204: E0501000 80093735
	v_cvt_f32_i32_e32 v88, v88                                 // 00000000420C: 7EB00B58
	v_cvt_f32_i32_e32 v89, v89                                 // 000000004210: 7EB20B59
	v_cvt_f32_i32_e32 v90, v90                                 // 000000004214: 7EB40B5A
	v_cvt_f32_i32_e32 v91, v91                                 // 000000004218: 7EB60B5B
	v_cvt_f32_i32_e32 v92, v92                                 // 00000000421C: 7EB80B5C
	v_cvt_f32_i32_e32 v93, v93                                 // 000000004220: 7EBA0B5D
	v_cvt_f32_i32_e32 v94, v94                                 // 000000004224: 7EBC0B5E
	v_cvt_f32_i32_e32 v95, v95                                 // 000000004228: 7EBE0B5F
	v_mul_f32_e32 v88, v46, v88                                // 00000000422C: 0AB0B12E
	v_mul_f32_e32 v89, v46, v89                                // 000000004230: 0AB2B32E
	v_mul_f32_e32 v90, v46, v90                                // 000000004234: 0AB4B52E
	v_mul_f32_e32 v91, v46, v91                                // 000000004238: 0AB6B72E
	v_mul_f32_e32 v92, v46, v92                                // 00000000423C: 0AB8B92E
	v_mul_f32_e32 v93, v46, v93                                // 000000004240: 0ABABB2E
	v_mul_f32_e32 v94, v46, v94                                // 000000004244: 0ABCBD2E
	v_mul_f32_e32 v95, v46, v95                                // 000000004248: 0ABEBF2E
	buffer_load_dwordx4 a[16:19], v24, s[16:19], 0 offen       // 00000000424C: E05C1000 80841018
	v_mul_f32_dpp v88, v124, v88 quad_perm:[0,0,0,0] row_mask:0xf bank_mask:0xf// 000000004254: 0AB0B0FA FF00007C
	v_mul_f32_dpp v89, v124, v89 quad_perm:[1,1,1,1] row_mask:0xf bank_mask:0xf// 00000000425C: 0AB2B2FA FF00557C
	v_mul_f32_dpp v90, v124, v90 quad_perm:[2,2,2,2] row_mask:0xf bank_mask:0xf// 000000004264: 0AB4B4FA FF00AA7C
	v_mul_f32_dpp v91, v124, v91 quad_perm:[3,3,3,3] row_mask:0xf bank_mask:0xf// 00000000426C: 0AB6B6FA FF00FF7C
	v_mul_f32_dpp v92, v125, v92 quad_perm:[0,0,0,0] row_mask:0xf bank_mask:0xf// 000000004274: 0AB8B8FA FF00007D
	v_mul_f32_dpp v93, v125, v93 quad_perm:[1,1,1,1] row_mask:0xf bank_mask:0xf// 00000000427C: 0ABABAFA FF00557D
	v_mul_f32_dpp v94, v125, v94 quad_perm:[2,2,2,2] row_mask:0xf bank_mask:0xf// 000000004284: 0ABCBCFA FF00AA7D
	v_mul_f32_dpp v95, v125, v95 quad_perm:[3,3,3,3] row_mask:0xf bank_mask:0xf// 00000000428C: 0ABEBEFA FF00FF7D
	buffer_load_dwordx4 a[20:23], v24, s[16:19], 0 offen offset:1024// 000000004294: E05C1400 80841418
	v_mov_b32_e32 v48, v88                                     // 00000000429C: 7E600358
	v_max3_f32 v48, v88, v89, v48                              // 0000000042A0: D1D30030 04C2B358
	v_max3_f32 v48, v90, v91, v48                              // 0000000042A8: D1D30030 04C2B75A
	v_max3_f32 v48, v92, v93, v48                              // 0000000042B0: D1D30030 04C2BB5C
	v_max3_f32 v48, v94, v95, v48                              // 0000000042B8: D1D30030 04C2BF5E
	ds_write_b32 v11, v48 offset:4224                          // 0000000042C0: D81A1080 0000300B
	buffer_load_dwordx4 a[24:27], v25, s[16:19], 0 offen       // 0000000042C8: E05C1000 80841819
	v_mul_u32_u24_dpp v38, v16, v51 row_newbcast:1 row_mask:0xf bank_mask:0xf// 0000000042D0: 104C66FA FF015110
	v_mul_u32_u24_dpp v39, v16, v51 row_newbcast:5 row_mask:0xf bank_mask:0xf// 0000000042D8: 104E66FA FF015510
	v_mul_u32_u24_dpp v40, v16, v51 row_newbcast:9 row_mask:0xf bank_mask:0xf// 0000000042E0: 105066FA FF015910
	v_mul_u32_u24_dpp v41, v16, v51 row_newbcast:13 row_mask:0xf bank_mask:0xf// 0000000042E8: 105266FA FF015D10
	v_add_u32_e32 v30, v38, v7                                 // 0000000042F0: 683C0F26
	v_add_u32_e32 v31, v39, v7                                 // 0000000042F4: 683E0F27
	v_add_u32_e32 v32, v40, v7                                 // 0000000042F8: 68400F28
	v_add_u32_e32 v33, v41, v7                                 // 0000000042FC: 68420F29
	s_waitcnt lgkmcnt(0)                                       // 000000004300: BF8CC07F
	s_barrier                                                  // 000000004304: BF8A0000
	ds_read_b32 v64, v10 offset:4224                           // 000000004308: D86C1080 4000000A
	ds_read_b32 v65, v10 offset:4288                           // 000000004310: D86C10C0 4100000A
	ds_read_b32 v66, v10 offset:4352                           // 000000004318: D86C1100 4200000A
	ds_read_b32 v67, v10 offset:4416                           // 000000004320: D86C1140 4300000A
	ds_read_b32 v68, v10 offset:4480                           // 000000004328: D86C1180 4400000A
	ds_read_b32 v69, v10 offset:4544                           // 000000004330: D86C11C0 4500000A
	ds_read_b32 v70, v10 offset:4608                           // 000000004338: D86C1200 4600000A
	ds_read_b32 v71, v10 offset:4672                           // 000000004340: D86C1240 4700000A
	ds_read_b32 v72, v10 offset:4736                           // 000000004348: D86C1280 4800000A
	ds_read_b32 v73, v10 offset:4800                           // 000000004350: D86C12C0 4900000A
	ds_read_b32 v74, v10 offset:4864                           // 000000004358: D86C1300 4A00000A
	ds_read_b32 v75, v10 offset:4928                           // 000000004360: D86C1340 4B00000A
	ds_read_b32 v76, v10 offset:4992                           // 000000004368: D86C1380 4C00000A
	ds_read_b32 v77, v10 offset:5056                           // 000000004370: D86C13C0 4D00000A
	ds_read_b32 v78, v10 offset:5120                           // 000000004378: D86C1400 4E00000A
	ds_read_b32 v79, v10 offset:5184                           // 000000004380: D86C1440 4F00000A
	buffer_load_dwordx4 a[28:31], v25, s[16:19], 0 offen offset:1024// 000000004388: E05C1400 80841C19
	v_mul_f32_e32 v112, v49, v112                              // 000000004390: 0AE0E131
	v_mul_f32_e32 v113, v49, v113                              // 000000004394: 0AE2E331
	v_mul_f32_e32 v114, v49, v114                              // 000000004398: 0AE4E531
	v_mul_f32_e32 v115, v49, v115                              // 00000000439C: 0AE6E731
	v_or_b32_dpp v104, v108, v104 row_shr:8 row_mask:0xf bank_mask:0xf bound_ctrl:1// 0000000043A0: 28D0D0FA FF09186C
	v_or_b32_dpp v105, v109, v105 row_shr:8 row_mask:0xf bank_mask:0xf bound_ctrl:1// 0000000043A8: 28D2D2FA FF09186D
	v_or_b32_dpp v106, v110, v106 row_shr:8 row_mask:0xf bank_mask:0xf bound_ctrl:1// 0000000043B0: 28D4D4FA FF09186E
	v_or_b32_dpp v107, v111, v107 row_shr:8 row_mask:0xf bank_mask:0xf bound_ctrl:1// 0000000043B8: 28D6D6FA FF09186F
	s_waitcnt lgkmcnt(0)                                       // 0000000043C0: BF8CC07F
	v_max3_f32 v48, v64, v65, v48                              // 0000000043C4: D1D30030 04C28340
	v_max3_f32 v48, v66, v67, v48                              // 0000000043CC: D1D30030 04C28742
	v_max3_f32 v48, v68, v69, v48                              // 0000000043D4: D1D30030 04C28B44
	v_max3_f32 v48, v70, v71, v48                              // 0000000043DC: D1D30030 04C28F46
	v_max3_f32 v48, v72, v73, v48                              // 0000000043E4: D1D30030 04C29348
	v_max3_f32 v48, v74, v75, v48                              // 0000000043EC: D1D30030 04C2974A
	v_max3_f32 v48, v76, v77, v48                              // 0000000043F4: D1D30030 04C29B4C
	v_max3_f32 v48, v78, v79, v48                              // 0000000043FC: D1D30030 04C29F4E
	buffer_load_dwordx4 a[64:67], v30, s[20:23], 0 offen       // 000000004404: E05C1000 8085401E
	v_cmp_eq_u32_e64 s[40:41], v52, v14                        // 00000000440C: D0CA0028 00021D34
	s_nop 1                                                    // 000000004414: BF800001
	v_mov_b32_dpp v38, v48 row_ror:8 row_mask:0xf bank_mask:0xf// 000000004418: 7E4C02FA FF012830
	v_max_f32_e32 v48, v48, v38                                // 000000004420: 16604D30
	v_max_f32_e32 v15, v48, v14                                // 000000004424: 161E1D30
	v_mul_f32_e32 v50, s64, v15                                // 000000004428: 0A641E40
	v_fma_f32 v88, v88, s64, -v50                              // 00000000442C: D1CB0058 84C88158
	v_fma_f32 v89, v89, s64, -v50                              // 000000004434: D1CB0059 84C88159
	v_fma_f32 v90, v90, s64, -v50                              // 00000000443C: D1CB005A 84C8815A
	v_fma_f32 v91, v91, s64, -v50                              // 000000004444: D1CB005B 84C8815B
	v_fma_f32 v92, v92, s64, -v50                              // 00000000444C: D1CB005C 84C8815C
	v_fma_f32 v93, v93, s64, -v50                              // 000000004454: D1CB005D 84C8815D
	v_fma_f32 v94, v94, s64, -v50                              // 00000000445C: D1CB005E 84C8815E
	v_fma_f32 v95, v95, s64, -v50                              // 000000004464: D1CB005F 84C8815F
	buffer_load_dwordx4 a[68:71], v31, s[20:23], 0 offen       // 00000000446C: E05C1000 8085441F
	v_exp_f32_e32 v88, v88                                     // 000000004474: 7EB04158
	v_exp_f32_e32 v89, v89                                     // 000000004478: 7EB24159
	v_exp_f32_e32 v90, v90                                     // 00000000447C: 7EB4415A
	v_exp_f32_e32 v91, v91                                     // 000000004480: 7EB6415B
	v_exp_f32_e32 v92, v92                                     // 000000004484: 7EB8415C
	v_exp_f32_e32 v93, v93                                     // 000000004488: 7EBA415D
	v_exp_f32_e32 v94, v94                                     // 00000000448C: 7EBC415E
	v_exp_f32_e32 v95, v95                                     // 000000004490: 7EBE415F
	buffer_load_dwordx4 a[72:75], v32, s[20:23], 0 offen       // 000000004494: E05C1000 80854820
	v_mul_f32_dpp v116, v126, v88 quad_perm:[0,0,0,0] row_mask:0xf bank_mask:0xf// 00000000449C: 0AE8B0FA FF00007E
	v_mul_f32_dpp v117, v126, v89 quad_perm:[1,1,1,1] row_mask:0xf bank_mask:0xf// 0000000044A4: 0AEAB2FA FF00557E
	v_mul_f32_dpp v118, v126, v90 quad_perm:[2,2,2,2] row_mask:0xf bank_mask:0xf// 0000000044AC: 0AECB4FA FF00AA7E
	v_mul_f32_dpp v119, v126, v91 quad_perm:[3,3,3,3] row_mask:0xf bank_mask:0xf// 0000000044B4: 0AEEB6FA FF00FF7E
	v_mul_f32_dpp v120, v127, v92 quad_perm:[0,0,0,0] row_mask:0xf bank_mask:0xf// 0000000044BC: 0AF0B8FA FF00007F
	v_mul_f32_dpp v121, v127, v93 quad_perm:[1,1,1,1] row_mask:0xf bank_mask:0xf// 0000000044C4: 0AF2BAFA FF00557F
	v_mul_f32_dpp v122, v127, v94 quad_perm:[2,2,2,2] row_mask:0xf bank_mask:0xf// 0000000044CC: 0AF4BCFA FF00AA7F
	v_mul_f32_dpp v123, v127, v95 quad_perm:[3,3,3,3] row_mask:0xf bank_mask:0xf// 0000000044D4: 0AF6BEFA FF00FF7F
	v_mov_b32_e32 v48, 0x358637bd                              // 0000000044DC: 7E6002FF 358637BD
	v_max3_f32 v48, |v116|, |v117|, v48                        // 0000000044E4: D1D30330 04C2EB74
	v_max3_f32 v48, |v118|, |v119|, v48                        // 0000000044EC: D1D30330 04C2EF76
	v_max3_f32 v48, |v120|, |v121|, v48                        // 0000000044F4: D1D30330 04C2F378
	v_max3_f32 v48, |v122|, |v123|, v48                        // 0000000044FC: D1D30330 04C2F77A
	buffer_load_dwordx4 a[76:79], v33, s[20:23], 0 offen       // 000000004504: E05C1000 80854C21
	ds_write_b32 v11, v48 offset:5248                          // 00000000450C: D81A1480 0000300B
	v_sub_f32_e32 v49, v14, v15                                // 000000004514: 04621F0E
	v_cndmask_b32_e64 v49, v49, 0, s[40:41]                    // 000000004518: D1000031 00A10131
	v_mov_b32_e32 v14, v15                                     // 000000004520: 7E1C030F
	v_mul_f32_e32 v49, s64, v49                                // 000000004524: 0A626240
	v_exp_f32_e32 v49, v49                                     // 000000004528: 7E624131
	s_waitcnt lgkmcnt(0)                                       // 00000000452C: BF8CC07F
	s_barrier                                                  // 000000004530: BF8A0000
	ds_read_b32 v64, v10 offset:5248                           // 000000004534: D86C1480 4000000A
	ds_read_b32 v65, v10 offset:5312                           // 00000000453C: D86C14C0 4100000A
	ds_read_b32 v66, v10 offset:5376                           // 000000004544: D86C1500 4200000A
	ds_read_b32 v67, v10 offset:5440                           // 00000000454C: D86C1540 4300000A
	ds_read_b32 v68, v10 offset:5504                           // 000000004554: D86C1580 4400000A
	ds_read_b32 v69, v10 offset:5568                           // 00000000455C: D86C15C0 4500000A
	ds_read_b32 v70, v10 offset:5632                           // 000000004564: D86C1600 4600000A
	ds_read_b32 v71, v10 offset:5696                           // 00000000456C: D86C1640 4700000A
	ds_read_b32 v72, v10 offset:5760                           // 000000004574: D86C1680 4800000A
	ds_read_b32 v73, v10 offset:5824                           // 00000000457C: D86C16C0 4900000A
	ds_read_b32 v74, v10 offset:5888                           // 000000004584: D86C1700 4A00000A
	ds_read_b32 v75, v10 offset:5952                           // 00000000458C: D86C1740 4B00000A
	ds_read_b32 v76, v10 offset:6016                           // 000000004594: D86C1780 4C00000A
	ds_read_b32 v77, v10 offset:6080                           // 00000000459C: D86C17C0 4D00000A
	ds_read_b32 v78, v10 offset:6144                           // 0000000045A4: D86C1800 4E00000A
	ds_read_b32 v79, v10 offset:6208                           // 0000000045AC: D86C1840 4F00000A
	v_mul_f32_e32 v42, v49, v42                                // 0000000045B4: 0A545531
	v_mov_b32_e32 v43, v88                                     // 0000000045B8: 7E560358
	v_add_f32_e32 v43, v89, v43                                // 0000000045BC: 02565759
	v_add_f32_e32 v43, v90, v43                                // 0000000045C0: 0256575A
	v_add_f32_e32 v43, v91, v43                                // 0000000045C4: 0256575B
	v_add_f32_e32 v43, v92, v43                                // 0000000045C8: 0256575C
	v_add_f32_e32 v43, v93, v43                                // 0000000045CC: 0256575D
	v_add_f32_e32 v43, v94, v43                                // 0000000045D0: 0256575E
	v_add_f32_e32 v43, v95, v43                                // 0000000045D4: 0256575F
	v_add_f32_e32 v42, v43, v42                                // 0000000045D8: 0254552B
	s_waitcnt lgkmcnt(0)                                       // 0000000045DC: BF8CC07F
	v_max3_f32 v48, |v64|, |v65|, v48                          // 0000000045E0: D1D30330 04C28340
	v_max3_f32 v48, |v66|, |v67|, v48                          // 0000000045E8: D1D30330 04C28742
	v_max3_f32 v48, |v68|, |v69|, v48                          // 0000000045F0: D1D30330 04C28B44
	v_max3_f32 v48, |v70|, |v71|, v48                          // 0000000045F8: D1D30330 04C28F46
	v_max3_f32 v48, |v72|, |v73|, v48                          // 000000004600: D1D30330 04C29348
	v_max3_f32 v48, |v74|, |v75|, v48                          // 000000004608: D1D30330 04C2974A
	v_max3_f32 v48, |v76|, |v77|, v48                          // 000000004610: D1D30330 04C29B4C
	v_max3_f32 v48, |v78|, |v79|, v48                          // 000000004618: D1D30330 04C29F4E
	s_nop 2                                                    // 000000004620: BF800002
	v_mov_b32_dpp v38, v48 row_ror:8 row_mask:0xf bank_mask:0xf// 000000004624: 7E4C02FA FF012830
	v_max_f32_e32 v48, v48, v38                                // 00000000462C: 16604D30
	v_rcp_f32_e32 v48, v48                                     // 000000004630: 7E604530
	s_nop 1                                                    // 000000004634: BF800001
	v_mul_f32_e32 v48, 0x42fe0000, v48                         // 000000004638: 0A6060FF 42FE0000
	v_mul_f32_e32 v88, v48, v116                               // 000000004640: 0AB0E930
	v_mul_f32_e32 v89, v48, v117                               // 000000004644: 0AB2EB30
	v_mul_f32_e32 v90, v48, v118                               // 000000004648: 0AB4ED30
	v_mul_f32_e32 v91, v48, v119                               // 00000000464C: 0AB6EF30
	v_mul_f32_e32 v92, v48, v120                               // 000000004650: 0AB8F130
	v_mul_f32_e32 v93, v48, v121                               // 000000004654: 0ABAF330
	v_mul_f32_e32 v94, v48, v122                               // 000000004658: 0ABCF530
	v_mul_f32_e32 v95, v48, v123                               // 00000000465C: 0ABEF730
	v_cvt_i32_f32_e32 v88, v88                                 // 000000004660: 7EB01158
	v_cvt_i32_f32_e32 v89, v89                                 // 000000004664: 7EB21159
	v_cvt_i32_f32_e32 v90, v90                                 // 000000004668: 7EB4115A
	v_cvt_i32_f32_e32 v91, v91                                 // 00000000466C: 7EB6115B
	v_cvt_i32_f32_e32 v92, v92                                 // 000000004670: 7EB8115C
	v_cvt_i32_f32_e32 v93, v93                                 // 000000004674: 7EBA115D
	v_cvt_i32_f32_e32 v94, v94                                 // 000000004678: 7EBC115E
	v_cvt_i32_f32_e32 v95, v95                                 // 00000000467C: 7EBE115F
	v_perm_b32 v88, v89, v88, s53                              // 000000004680: D1ED0058 00D6B159
	v_perm_b32 v88, v90, v88, s54                              // 000000004688: D1ED0058 00DAB15A
	v_perm_b32 v88, v91, v88, s55                              // 000000004690: D1ED0058 00DEB15B
	v_perm_b32 v89, v93, v92, s53                              // 000000004698: D1ED0059 00D6B95D
	v_perm_b32 v89, v94, v89, s54                              // 0000000046A0: D1ED0059 00DAB35E
	v_perm_b32 v89, v95, v89, s55                              // 0000000046A8: D1ED0059 00DEB35F
	ds_write_b32 v13, v88 offset:6272                          // 0000000046B0: D81A1880 0000580D
	ds_write_b32 v13, v89 offset:7296                          // 0000000046B8: D81A1C80 0000590D
	v_cvt_f32_i32_e32 v104, v104                               // 0000000046C0: 7ED00B68
	v_cvt_f32_i32_e32 v105, v105                               // 0000000046C4: 7ED20B69
	v_cvt_f32_i32_e32 v106, v106                               // 0000000046C8: 7ED40B6A
	v_cvt_f32_i32_e32 v107, v107                               // 0000000046CC: 7ED60B6B
	v_mul_f32_e32 v104, v47, v104                              // 0000000046D0: 0AD0D12F
	v_mul_f32_e32 v105, v47, v105                              // 0000000046D4: 0AD2D32F
	v_mul_f32_e32 v106, v47, v106                              // 0000000046D8: 0AD4D52F
	v_mul_f32_e32 v107, v47, v107                              // 0000000046DC: 0AD6D72F
	v_rcp_f32_e32 v47, v48                                     // 0000000046E0: 7E5E4530
	s_waitcnt lgkmcnt(0)                                       // 0000000046E4: BF8CC07F
	s_barrier                                                  // 0000000046E8: BF8A0000
	ds_read_b64 v[88:89], v12 offset:6272                      // 0000000046EC: D8EC1880 5800000C
	ds_read_b64 v[90:91], v12 offset:6400                      // 0000000046F4: D8EC1900 5A00000C
	ds_read_b64 v[92:93], v12 offset:7296                      // 0000000046FC: D8EC1C80 5C00000C
	ds_read_b64 v[94:95], v12 offset:7424                      // 000000004704: D8EC1D00 5E00000C
	v_add_f32_e32 v112, v112, v104                             // 00000000470C: 02E0D170
	v_add_f32_e32 v113, v113, v105                             // 000000004710: 02E2D371
	v_add_f32_e32 v114, v114, v106                             // 000000004714: 02E4D572
	v_add_f32_e32 v115, v115, v107                             // 000000004718: 02E6D773
	s_waitcnt lgkmcnt(3)                                       // 00000000471C: BF8CC37F
	v_mov_b32_dpp v96, v88 row_shl:8 row_mask:0xf bank_mask:0xf bound_ctrl:1// 000000004720: 7EC002FA FF090858
	v_and_b32_e32 v88, v88, v9                                 // 000000004728: 26B01358
	v_mov_b32_dpp v97, v89 row_shl:8 row_mask:0xf bank_mask:0xf bound_ctrl:1// 00000000472C: 7EC202FA FF090859
	v_and_b32_e32 v89, v89, v9                                 // 000000004734: 26B21359
	s_waitcnt lgkmcnt(2)                                       // 000000004738: BF8CC27F
	v_mov_b32_dpp v98, v90 row_shl:8 row_mask:0xf bank_mask:0xf bound_ctrl:1// 00000000473C: 7EC402FA FF09085A
	v_and_b32_e32 v90, v90, v9                                 // 000000004744: 26B4135A
	v_mov_b32_dpp v99, v91 row_shl:8 row_mask:0xf bank_mask:0xf bound_ctrl:1// 000000004748: 7EC602FA FF09085B
	v_and_b32_e32 v91, v91, v9                                 // 000000004750: 26B6135B
	s_waitcnt lgkmcnt(1)                                       // 000000004754: BF8CC17F
	v_mov_b32_dpp v100, v92 row_shl:8 row_mask:0xf bank_mask:0xf bound_ctrl:1// 000000004758: 7EC802FA FF09085C
	v_and_b32_e32 v92, v92, v9                                 // 000000004760: 26B8135C
	v_mov_b32_dpp v101, v93 row_shl:8 row_mask:0xf bank_mask:0xf bound_ctrl:1// 000000004764: 7ECA02FA FF09085D
	v_and_b32_e32 v93, v93, v9                                 // 00000000476C: 26BA135D
	s_waitcnt lgkmcnt(0)                                       // 000000004770: BF8CC07F
	v_mov_b32_dpp v102, v94 row_shl:8 row_mask:0xf bank_mask:0xf bound_ctrl:1// 000000004774: 7ECC02FA FF09085E
	v_and_b32_e32 v94, v94, v9                                 // 00000000477C: 26BC135E
	v_mov_b32_dpp v103, v95 row_shl:8 row_mask:0xf bank_mask:0xf bound_ctrl:1// 000000004780: 7ECE02FA FF09085F
	v_and_b32_e32 v95, v95, v9                                 // 000000004788: 26BE135F
	s_waitcnt vmcnt(15)                                        // 00000000478C: BF8C0F7F
	v_mfma_i32_16x16x32_i8 v[104:107], a[96:97], v[88:89], 0   // 000000004790: D3D70068 0A02B160
	buffer_load_dwordx4 a[80:83], v30, s[20:23], 0 offen offset:1024// 000000004798: E05C1400 8085501E
	v_mfma_i32_16x16x32_i8 v[104:107], a[98:99], v[90:91], v[104:107]// 0000000047A0: D3D70068 0DA2B562
	v_mfma_i32_16x16x32_i8 v[104:107], a[100:101], v[92:93], v[104:107]// 0000000047A8: D3D70068 0DA2B964
	v_mfma_i32_16x16x32_i8 v[104:107], a[102:103], v[94:95], v[104:107]// 0000000047B0: D3D70068 0DA2BD66
	v_mfma_i32_16x16x32_i8 v[104:107], a[104:105], v[96:97], v[104:107]// 0000000047B8: D3D70068 0DA2C168
	buffer_load_dwordx4 a[84:87], v31, s[20:23], 0 offen offset:1024// 0000000047C0: E05C1400 8085541F
	v_mfma_i32_16x16x32_i8 v[104:107], a[106:107], v[98:99], v[104:107]// 0000000047C8: D3D70068 0DA2C56A
	v_mfma_i32_16x16x32_i8 v[104:107], a[108:109], v[100:101], v[104:107]// 0000000047D0: D3D70068 0DA2C96C
	v_mfma_i32_16x16x32_i8 v[104:107], a[110:111], v[102:103], v[104:107]// 0000000047D8: D3D70068 0DA2CD6E
	v_mfma_i32_16x16x32_i8 v[108:111], a[112:113], v[88:89], 0 // 0000000047E0: D3D7006C 0A02B170
	buffer_load_dwordx4 a[88:91], v32, s[20:23], 0 offen offset:1024// 0000000047E8: E05C1400 80855820
	v_mfma_i32_16x16x32_i8 v[108:111], a[114:115], v[90:91], v[108:111]// 0000000047F0: D3D7006C 0DB2B572
	v_mfma_i32_16x16x32_i8 v[108:111], a[116:117], v[92:93], v[108:111]// 0000000047F8: D3D7006C 0DB2B974
	v_mfma_i32_16x16x32_i8 v[108:111], a[118:119], v[94:95], v[108:111]// 000000004800: D3D7006C 0DB2BD76
	v_mfma_i32_16x16x32_i8 v[108:111], a[120:121], v[96:97], v[108:111]// 000000004808: D3D7006C 0DB2C178
	buffer_load_dwordx4 a[92:95], v33, s[20:23], 0 offen offset:1024// 000000004810: E05C1400 80855C21
	v_mfma_i32_16x16x32_i8 v[108:111], a[122:123], v[98:99], v[108:111]// 000000004818: D3D7006C 0DB2C57A
	v_mfma_i32_16x16x32_i8 v[108:111], a[124:125], v[100:101], v[108:111]// 000000004820: D3D7006C 0DB2C97C
	s_lshr_b32 s57, s70, 4                                     // 000000004828: 8F398446
	s_add_u32 s57, 48, s57                                     // 00000000482C: 803939B0
	v_mfma_i32_16x16x32_i8 v[108:111], a[126:127], v[102:103], v[108:111]// 000000004830: D3D7006C 0DB2CD7E
	s_cmp_ge_u32 s57, s73                                      // 000000004838: BF094939
	s_cselect_b32 s56, 0, s56                                  // 00000000483C: 85383880
	v_add_u32_e32 v1, s56, v1                                  // 000000004840: 68020238
	s_addk_i32 s70, 0x100                                      // 000000004844: B7460100
	s_cmp_lt_i32 s70, s71                                      // 000000004848: BF044746
	s_cbranch_scc0 label_05ED                                  // 00000000484C: BF84FC19
	s_branch label_05F0                                        // 000000004850: BF82FC1B

0000000000004854 <label_09D5>:
	s_lshr_b32 s60, s71, 4                                     // 000000004854: 8F3C8447
	s_cmp_eq_i32 s60, s73                                      // 000000004858: BF00493C
	s_cbranch_scc1 label_0DC6                                  // 00000000485C: BF8503EE
	s_lshr_b32 s60, s71, 8                                     // 000000004860: 8F3C8847
	s_and_b32 s60, s60, 1                                      // 000000004864: 863C813C
	s_cmp_eq_i32 s60, 1                                        // 000000004868: BF00813C
	s_cbranch_scc1 label_0BD1                                  // 00000000486C: BF8501F5
	s_waitcnt vmcnt(8) lgkmcnt(0)                              // 000000004870: BF8C0078
	s_barrier                                                  // 000000004874: BF8A0000
	v_mfma_i32_16x16x32_i8 v[88:91], a[0:1], v[80:81], 0       // 000000004878: D3D70058 0A02A100
	v_mfma_i32_16x16x32_i8 v[88:91], a[2:3], v[82:83], v[88:91]// 000000004880: D3D70058 0D62A502
	v_mfma_i32_16x16x32_i8 v[88:91], a[4:5], v[84:85], v[88:91]// 000000004888: D3D70058 0D62A904
	v_mfma_i32_16x16x32_i8 v[88:91], a[6:7], v[86:87], v[88:91]// 000000004890: D3D70058 0D62AD06
	v_mfma_i32_16x16x32_i8 v[92:95], a[8:9], v[80:81], 0       // 000000004898: D3D7005C 0A02A108
	v_mfma_i32_16x16x32_i8 v[92:95], a[10:11], v[82:83], v[92:95]// 0000000048A0: D3D7005C 0D72A50A
	v_mfma_i32_16x16x32_i8 v[92:95], a[12:13], v[84:85], v[92:95]// 0000000048A8: D3D7005C 0D72A90C
	v_mfma_i32_16x16x32_i8 v[92:95], a[14:15], v[86:87], v[92:95]// 0000000048B0: D3D7005C 0D72AD0E
	v_mfma_i32_16x16x32_i8 v[96:99], a[16:17], v[80:81], 0     // 0000000048B8: D3D70060 0A02A110
	v_mfma_i32_16x16x32_i8 v[96:99], a[18:19], v[82:83], v[96:99]// 0000000048C0: D3D70060 0D82A512
	v_mfma_i32_16x16x32_i8 v[96:99], a[20:21], v[84:85], v[96:99]// 0000000048C8: D3D70060 0D82A914
	v_mfma_i32_16x16x32_i8 v[96:99], a[22:23], v[86:87], v[96:99]// 0000000048D0: D3D70060 0D82AD16
	v_mfma_i32_16x16x32_i8 v[100:103], a[24:25], v[80:81], 0   // 0000000048D8: D3D70064 0A02A118
	v_mfma_i32_16x16x32_i8 v[100:103], a[26:27], v[82:83], v[100:103]// 0000000048E0: D3D70064 0D92A51A
	v_mfma_i32_16x16x32_i8 v[100:103], a[28:29], v[84:85], v[100:103]// 0000000048E8: D3D70064 0D92A91C
	v_mfma_i32_16x16x32_i8 v[100:103], a[30:31], v[86:87], v[100:103]// 0000000048F0: D3D70064 0D92AD1E
	v_mov_b32_dpp v38, v44 row_shr:4 row_mask:0xf bank_mask:0xf// 0000000048F8: 7E4C02FA FF01142C
	v_mov_b32_dpp v39, v44 row_shl:4 row_mask:0xf bank_mask:0xf// 000000004900: 7E4E02FA FF01042C
	v_cndmask_b32_e64 v124, v44, v38, s[44:45]                 // 000000004908: D100007C 00B24D2C
	v_cndmask_b32_e64 v125, v39, v44, s[44:45]                 // 000000004910: D100007D 00B25927
	v_mov_b32_dpp v38, v55 row_shr:4 row_mask:0xf bank_mask:0xf// 000000004918: 7E4C02FA FF011437
	v_mov_b32_dpp v39, v55 row_shl:4 row_mask:0xf bank_mask:0xf// 000000004920: 7E4E02FA FF010437
	v_cndmask_b32_e64 v126, v55, v38, s[44:45]                 // 000000004928: D100007E 00B24D37
	v_cndmask_b32_e64 v127, v39, v55, s[44:45]                 // 000000004930: D100007F 00B26F27
	v_or_b32_dpp v88, v96, v88 row_shr:8 row_mask:0xf bank_mask:0xf bound_ctrl:1// 000000004938: 28B0B0FA FF091860
	v_or_b32_dpp v89, v97, v89 row_shr:8 row_mask:0xf bank_mask:0xf bound_ctrl:1// 000000004940: 28B2B2FA FF091861
	v_or_b32_dpp v90, v98, v90 row_shr:8 row_mask:0xf bank_mask:0xf bound_ctrl:1// 000000004948: 28B4B4FA FF091862
	v_or_b32_dpp v91, v99, v91 row_shr:8 row_mask:0xf bank_mask:0xf bound_ctrl:1// 000000004950: 28B6B6FA FF091863
	v_or_b32_dpp v92, v100, v92 row_shr:8 row_mask:0xf bank_mask:0xf bound_ctrl:1// 000000004958: 28B8B8FA FF091864
	v_or_b32_dpp v93, v101, v93 row_shr:8 row_mask:0xf bank_mask:0xf bound_ctrl:1// 000000004960: 28BABAFA FF091865
	v_or_b32_dpp v94, v102, v94 row_shr:8 row_mask:0xf bank_mask:0xf bound_ctrl:1// 000000004968: 28BCBCFA FF091866
	v_or_b32_dpp v95, v103, v95 row_shr:8 row_mask:0xf bank_mask:0xf bound_ctrl:1// 000000004970: 28BEBEFA FF091867
	v_cvt_f32_i32_e32 v88, v88                                 // 000000004978: 7EB00B58
	v_cvt_f32_i32_e32 v89, v89                                 // 00000000497C: 7EB20B59
	v_cvt_f32_i32_e32 v90, v90                                 // 000000004980: 7EB40B5A
	v_cvt_f32_i32_e32 v91, v91                                 // 000000004984: 7EB60B5B
	v_cvt_f32_i32_e32 v92, v92                                 // 000000004988: 7EB80B5C
	v_cvt_f32_i32_e32 v93, v93                                 // 00000000498C: 7EBA0B5D
	v_cvt_f32_i32_e32 v94, v94                                 // 000000004990: 7EBC0B5E
	v_cvt_f32_i32_e32 v95, v95                                 // 000000004994: 7EBE0B5F
	v_mul_f32_e32 v88, v46, v88                                // 000000004998: 0AB0B12E
	v_mul_f32_e32 v89, v46, v89                                // 00000000499C: 0AB2B32E
	v_mul_f32_e32 v90, v46, v90                                // 0000000049A0: 0AB4B52E
	v_mul_f32_e32 v91, v46, v91                                // 0000000049A4: 0AB6B72E
	v_mul_f32_e32 v92, v46, v92                                // 0000000049A8: 0AB8B92E
	v_mul_f32_e32 v93, v46, v93                                // 0000000049AC: 0ABABB2E
	v_mul_f32_e32 v94, v46, v94                                // 0000000049B0: 0ABCBD2E
	v_mul_f32_e32 v95, v46, v95                                // 0000000049B4: 0ABEBF2E
	v_mul_f32_dpp v88, v124, v88 quad_perm:[0,0,0,0] row_mask:0xf bank_mask:0xf// 0000000049B8: 0AB0B0FA FF00007C
	v_mul_f32_dpp v89, v124, v89 quad_perm:[1,1,1,1] row_mask:0xf bank_mask:0xf// 0000000049C0: 0AB2B2FA FF00557C
	v_mul_f32_dpp v90, v124, v90 quad_perm:[2,2,2,2] row_mask:0xf bank_mask:0xf// 0000000049C8: 0AB4B4FA FF00AA7C
	v_mul_f32_dpp v91, v124, v91 quad_perm:[3,3,3,3] row_mask:0xf bank_mask:0xf// 0000000049D0: 0AB6B6FA FF00FF7C
	v_mul_f32_dpp v92, v125, v92 quad_perm:[0,0,0,0] row_mask:0xf bank_mask:0xf// 0000000049D8: 0AB8B8FA FF00007D
	v_mul_f32_dpp v93, v125, v93 quad_perm:[1,1,1,1] row_mask:0xf bank_mask:0xf// 0000000049E0: 0ABABAFA FF00557D
	v_mul_f32_dpp v94, v125, v94 quad_perm:[2,2,2,2] row_mask:0xf bank_mask:0xf// 0000000049E8: 0ABCBCFA FF00AA7D
	v_mul_f32_dpp v95, v125, v95 quad_perm:[3,3,3,3] row_mask:0xf bank_mask:0xf// 0000000049F0: 0ABEBEFA FF00FF7D
	s_and_b32 s60, s72, 0xff                                   // 0000000049F8: 863CFF48 000000FF
	v_mov_b32_e32 v62, s60                                     // 000000004A00: 7E7C023C
	v_lshrrev_b32_e32 v116, 4, v0                              // 000000004A04: 20E80084
	v_mul_i32_i24_e32 v116, 4, v116                            // 000000004A08: 0CE8E884
	v_and_b32_e32 v38, 15, v0                                  // 000000004A0C: 264C008F
	v_lshrrev_b32_e32 v38, 3, v38                              // 000000004A10: 204C4C83
	v_mul_i32_i24_e32 v38, 0x80, v38                           // 000000004A14: 0C4C4CFF 00000080
	v_add_u32_e32 v116, v38, v116                              // 000000004A1C: 68E8E926
	s_mul_i32 s60, s7, 16                                      // 000000004A20: 923C9007
	v_add_u32_e32 v116, s60, v116                              // 000000004A24: 68E8E83C
	v_add_u32_e32 v117, 1, v116                                // 000000004A28: 68EAE881
	v_add_u32_e32 v118, 2, v116                                // 000000004A2C: 68ECE882
	v_add_u32_e32 v119, 3, v116                                // 000000004A30: 68EEE883
	v_cmp_lt_u32_e64 s[40:41], v116, v62                       // 000000004A34: D0C90028 00027D74
	v_add_u32_e32 v116, 64, v116                               // 000000004A3C: 68E8E8C0
	s_nop 0                                                    // 000000004A40: BF800000
	v_cndmask_b32_e64 v88, v52, v88, s[40:41]                  // 000000004A44: D1000058 00A2B134
	v_cmp_lt_u32_e64 s[40:41], v117, v62                       // 000000004A4C: D0C90028 00027D75
	v_add_u32_e32 v117, 64, v117                               // 000000004A54: 68EAEAC0
	s_nop 0                                                    // 000000004A58: BF800000
	v_cndmask_b32_e64 v89, v52, v89, s[40:41]                  // 000000004A5C: D1000059 00A2B334
	v_cmp_lt_u32_e64 s[40:41], v118, v62                       // 000000004A64: D0C90028 00027D76
	v_add_u32_e32 v118, 64, v118                               // 000000004A6C: 68ECECC0
	s_nop 0                                                    // 000000004A70: BF800000
	v_cndmask_b32_e64 v90, v52, v90, s[40:41]                  // 000000004A74: D100005A 00A2B534
	v_cmp_lt_u32_e64 s[40:41], v119, v62                       // 000000004A7C: D0C90028 00027D77
	v_add_u32_e32 v119, 64, v119                               // 000000004A84: 68EEEEC0
	s_nop 0                                                    // 000000004A88: BF800000
	v_cndmask_b32_e64 v91, v52, v91, s[40:41]                  // 000000004A8C: D100005B 00A2B734
	v_cmp_lt_u32_e64 s[40:41], v116, v62                       // 000000004A94: D0C90028 00027D74
	v_add_u32_e32 v116, 64, v116                               // 000000004A9C: 68E8E8C0
	s_nop 0                                                    // 000000004AA0: BF800000
	v_cndmask_b32_e64 v92, v52, v92, s[40:41]                  // 000000004AA4: D100005C 00A2B934
	v_cmp_lt_u32_e64 s[40:41], v117, v62                       // 000000004AAC: D0C90028 00027D75
	v_add_u32_e32 v117, 64, v117                               // 000000004AB4: 68EAEAC0
	s_nop 0                                                    // 000000004AB8: BF800000
	v_cndmask_b32_e64 v93, v52, v93, s[40:41]                  // 000000004ABC: D100005D 00A2BB34
	v_cmp_lt_u32_e64 s[40:41], v118, v62                       // 000000004AC4: D0C90028 00027D76
	v_add_u32_e32 v118, 64, v118                               // 000000004ACC: 68ECECC0
	s_nop 0                                                    // 000000004AD0: BF800000
	v_cndmask_b32_e64 v94, v52, v94, s[40:41]                  // 000000004AD4: D100005E 00A2BD34
	v_cmp_lt_u32_e64 s[40:41], v119, v62                       // 000000004ADC: D0C90028 00027D77
	v_add_u32_e32 v119, 64, v119                               // 000000004AE4: 68EEEEC0
	s_nop 0                                                    // 000000004AE8: BF800000
	v_cndmask_b32_e64 v95, v52, v95, s[40:41]                  // 000000004AEC: D100005F 00A2BF34
	v_mov_b32_e32 v48, v88                                     // 000000004AF4: 7E600358
	v_max3_f32 v48, v88, v89, v48                              // 000000004AF8: D1D30030 04C2B358
	v_max3_f32 v48, v90, v91, v48                              // 000000004B00: D1D30030 04C2B75A
	v_max3_f32 v48, v92, v93, v48                              // 000000004B08: D1D30030 04C2BB5C
	v_max3_f32 v48, v94, v95, v48                              // 000000004B10: D1D30030 04C2BF5E
	ds_write_b32 v11, v48 offset:4224                          // 000000004B18: D81A1080 0000300B
	v_mul_u32_u24_dpp v38, v17, v51 row_newbcast:1 row_mask:0xf bank_mask:0xf// 000000004B20: 104C66FA FF015111
	v_mul_u32_u24_dpp v39, v17, v51 row_newbcast:5 row_mask:0xf bank_mask:0xf// 000000004B28: 104E66FA FF015511
	v_mul_u32_u24_dpp v40, v17, v51 row_newbcast:9 row_mask:0xf bank_mask:0xf// 000000004B30: 105066FA FF015911
	v_mul_u32_u24_dpp v41, v17, v51 row_newbcast:13 row_mask:0xf bank_mask:0xf// 000000004B38: 105266FA FF015D11
	v_add_u32_e32 v34, v38, v7                                 // 000000004B40: 68440F26
	v_add_u32_e32 v35, v39, v7                                 // 000000004B44: 68460F27
	v_add_u32_e32 v36, v40, v7                                 // 000000004B48: 68480F28
	v_add_u32_e32 v37, v41, v7                                 // 000000004B4C: 684A0F29
	s_waitcnt lgkmcnt(0)                                       // 000000004B50: BF8CC07F
	s_barrier                                                  // 000000004B54: BF8A0000
	ds_read_b32 v64, v10 offset:4224                           // 000000004B58: D86C1080 4000000A
	ds_read_b32 v65, v10 offset:4288                           // 000000004B60: D86C10C0 4100000A
	ds_read_b32 v66, v10 offset:4352                           // 000000004B68: D86C1100 4200000A
	ds_read_b32 v67, v10 offset:4416                           // 000000004B70: D86C1140 4300000A
	ds_read_b32 v68, v10 offset:4480                           // 000000004B78: D86C1180 4400000A
	ds_read_b32 v69, v10 offset:4544                           // 000000004B80: D86C11C0 4500000A
	ds_read_b32 v70, v10 offset:4608                           // 000000004B88: D86C1200 4600000A
	ds_read_b32 v71, v10 offset:4672                           // 000000004B90: D86C1240 4700000A
	ds_read_b32 v72, v10 offset:4736                           // 000000004B98: D86C1280 4800000A
	ds_read_b32 v73, v10 offset:4800                           // 000000004BA0: D86C12C0 4900000A
	ds_read_b32 v74, v10 offset:4864                           // 000000004BA8: D86C1300 4A00000A
	ds_read_b32 v75, v10 offset:4928                           // 000000004BB0: D86C1340 4B00000A
	ds_read_b32 v76, v10 offset:4992                           // 000000004BB8: D86C1380 4C00000A
	ds_read_b32 v77, v10 offset:5056                           // 000000004BC0: D86C13C0 4D00000A
	ds_read_b32 v78, v10 offset:5120                           // 000000004BC8: D86C1400 4E00000A
	ds_read_b32 v79, v10 offset:5184                           // 000000004BD0: D86C1440 4F00000A
	v_mul_f32_e32 v112, v49, v112                              // 000000004BD8: 0AE0E131
	v_mul_f32_e32 v113, v49, v113                              // 000000004BDC: 0AE2E331
	v_mul_f32_e32 v114, v49, v114                              // 000000004BE0: 0AE4E531
	v_mul_f32_e32 v115, v49, v115                              // 000000004BE4: 0AE6E731
	v_or_b32_dpp v104, v108, v104 row_shr:8 row_mask:0xf bank_mask:0xf bound_ctrl:1// 000000004BE8: 28D0D0FA FF09186C
	v_or_b32_dpp v105, v109, v105 row_shr:8 row_mask:0xf bank_mask:0xf bound_ctrl:1// 000000004BF0: 28D2D2FA FF09186D
	v_or_b32_dpp v106, v110, v106 row_shr:8 row_mask:0xf bank_mask:0xf bound_ctrl:1// 000000004BF8: 28D4D4FA FF09186E
	v_or_b32_dpp v107, v111, v107 row_shr:8 row_mask:0xf bank_mask:0xf bound_ctrl:1// 000000004C00: 28D6D6FA FF09186F
	s_waitcnt lgkmcnt(0)                                       // 000000004C08: BF8CC07F
	v_max3_f32 v48, v64, v65, v48                              // 000000004C0C: D1D30030 04C28340
	v_max3_f32 v48, v66, v67, v48                              // 000000004C14: D1D30030 04C28742
	v_max3_f32 v48, v68, v69, v48                              // 000000004C1C: D1D30030 04C28B44
	v_max3_f32 v48, v70, v71, v48                              // 000000004C24: D1D30030 04C28F46
	v_max3_f32 v48, v72, v73, v48                              // 000000004C2C: D1D30030 04C29348
	v_max3_f32 v48, v74, v75, v48                              // 000000004C34: D1D30030 04C2974A
	v_max3_f32 v48, v76, v77, v48                              // 000000004C3C: D1D30030 04C29B4C
	v_max3_f32 v48, v78, v79, v48                              // 000000004C44: D1D30030 04C29F4E
	v_cmp_eq_u32_e64 s[40:41], v52, v14                        // 000000004C4C: D0CA0028 00021D34
	s_nop 1                                                    // 000000004C54: BF800001
	v_mov_b32_dpp v38, v48 row_ror:8 row_mask:0xf bank_mask:0xf// 000000004C58: 7E4C02FA FF012830
	v_max_f32_e32 v48, v48, v38                                // 000000004C60: 16604D30
	v_max_f32_e32 v15, v48, v14                                // 000000004C64: 161E1D30
	v_mul_f32_e32 v50, s64, v15                                // 000000004C68: 0A641E40
	v_fma_f32 v88, v88, s64, -v50                              // 000000004C6C: D1CB0058 84C88158
	v_fma_f32 v89, v89, s64, -v50                              // 000000004C74: D1CB0059 84C88159
	v_fma_f32 v90, v90, s64, -v50                              // 000000004C7C: D1CB005A 84C8815A
	v_fma_f32 v91, v91, s64, -v50                              // 000000004C84: D1CB005B 84C8815B
	v_fma_f32 v92, v92, s64, -v50                              // 000000004C8C: D1CB005C 84C8815C
	v_fma_f32 v93, v93, s64, -v50                              // 000000004C94: D1CB005D 84C8815D
	v_fma_f32 v94, v94, s64, -v50                              // 000000004C9C: D1CB005E 84C8815E
	v_fma_f32 v95, v95, s64, -v50                              // 000000004CA4: D1CB005F 84C8815F
	v_exp_f32_e32 v88, v88                                     // 000000004CAC: 7EB04158
	v_exp_f32_e32 v89, v89                                     // 000000004CB0: 7EB24159
	v_exp_f32_e32 v90, v90                                     // 000000004CB4: 7EB4415A
	v_exp_f32_e32 v91, v91                                     // 000000004CB8: 7EB6415B
	v_exp_f32_e32 v92, v92                                     // 000000004CBC: 7EB8415C
	v_exp_f32_e32 v93, v93                                     // 000000004CC0: 7EBA415D
	v_exp_f32_e32 v94, v94                                     // 000000004CC4: 7EBC415E
	v_exp_f32_e32 v95, v95                                     // 000000004CC8: 7EBE415F
	v_mul_f32_dpp v116, v126, v88 quad_perm:[0,0,0,0] row_mask:0xf bank_mask:0xf// 000000004CCC: 0AE8B0FA FF00007E
	v_mul_f32_dpp v117, v126, v89 quad_perm:[1,1,1,1] row_mask:0xf bank_mask:0xf// 000000004CD4: 0AEAB2FA FF00557E
	v_mul_f32_dpp v118, v126, v90 quad_perm:[2,2,2,2] row_mask:0xf bank_mask:0xf// 000000004CDC: 0AECB4FA FF00AA7E
	v_mul_f32_dpp v119, v126, v91 quad_perm:[3,3,3,3] row_mask:0xf bank_mask:0xf// 000000004CE4: 0AEEB6FA FF00FF7E
	v_mul_f32_dpp v120, v127, v92 quad_perm:[0,0,0,0] row_mask:0xf bank_mask:0xf// 000000004CEC: 0AF0B8FA FF00007F
	v_mul_f32_dpp v121, v127, v93 quad_perm:[1,1,1,1] row_mask:0xf bank_mask:0xf// 000000004CF4: 0AF2BAFA FF00557F
	v_mul_f32_dpp v122, v127, v94 quad_perm:[2,2,2,2] row_mask:0xf bank_mask:0xf// 000000004CFC: 0AF4BCFA FF00AA7F
	v_mul_f32_dpp v123, v127, v95 quad_perm:[3,3,3,3] row_mask:0xf bank_mask:0xf// 000000004D04: 0AF6BEFA FF00FF7F
	v_mov_b32_e32 v48, 0x358637bd                              // 000000004D0C: 7E6002FF 358637BD
	v_max3_f32 v48, |v116|, |v117|, v48                        // 000000004D14: D1D30330 04C2EB74
	v_max3_f32 v48, |v118|, |v119|, v48                        // 000000004D1C: D1D30330 04C2EF76
	v_max3_f32 v48, |v120|, |v121|, v48                        // 000000004D24: D1D30330 04C2F378
	v_max3_f32 v48, |v122|, |v123|, v48                        // 000000004D2C: D1D30330 04C2F77A
	ds_write_b32 v11, v48 offset:5248                          // 000000004D34: D81A1480 0000300B
	v_sub_f32_e32 v49, v14, v15                                // 000000004D3C: 04621F0E
	v_cndmask_b32_e64 v49, v49, 0, s[40:41]                    // 000000004D40: D1000031 00A10131
	v_mov_b32_e32 v14, v15                                     // 000000004D48: 7E1C030F
	v_mul_f32_e32 v49, s64, v49                                // 000000004D4C: 0A626240
	v_exp_f32_e32 v49, v49                                     // 000000004D50: 7E624131
	s_waitcnt lgkmcnt(0)                                       // 000000004D54: BF8CC07F
	s_barrier                                                  // 000000004D58: BF8A0000
	ds_read_b32 v64, v10 offset:5248                           // 000000004D5C: D86C1480 4000000A
	ds_read_b32 v65, v10 offset:5312                           // 000000004D64: D86C14C0 4100000A
	ds_read_b32 v66, v10 offset:5376                           // 000000004D6C: D86C1500 4200000A
	ds_read_b32 v67, v10 offset:5440                           // 000000004D74: D86C1540 4300000A
	ds_read_b32 v68, v10 offset:5504                           // 000000004D7C: D86C1580 4400000A
	ds_read_b32 v69, v10 offset:5568                           // 000000004D84: D86C15C0 4500000A
	ds_read_b32 v70, v10 offset:5632                           // 000000004D8C: D86C1600 4600000A
	ds_read_b32 v71, v10 offset:5696                           // 000000004D94: D86C1640 4700000A
	ds_read_b32 v72, v10 offset:5760                           // 000000004D9C: D86C1680 4800000A
	ds_read_b32 v73, v10 offset:5824                           // 000000004DA4: D86C16C0 4900000A
	ds_read_b32 v74, v10 offset:5888                           // 000000004DAC: D86C1700 4A00000A
	ds_read_b32 v75, v10 offset:5952                           // 000000004DB4: D86C1740 4B00000A
	ds_read_b32 v76, v10 offset:6016                           // 000000004DBC: D86C1780 4C00000A
	ds_read_b32 v77, v10 offset:6080                           // 000000004DC4: D86C17C0 4D00000A
	ds_read_b32 v78, v10 offset:6144                           // 000000004DCC: D86C1800 4E00000A
	ds_read_b32 v79, v10 offset:6208                           // 000000004DD4: D86C1840 4F00000A
	v_mul_f32_e32 v42, v49, v42                                // 000000004DDC: 0A545531
	v_mov_b32_e32 v43, v88                                     // 000000004DE0: 7E560358
	v_add_f32_e32 v43, v89, v43                                // 000000004DE4: 02565759
	v_add_f32_e32 v43, v90, v43                                // 000000004DE8: 0256575A
	v_add_f32_e32 v43, v91, v43                                // 000000004DEC: 0256575B
	v_add_f32_e32 v43, v92, v43                                // 000000004DF0: 0256575C
	v_add_f32_e32 v43, v93, v43                                // 000000004DF4: 0256575D
	v_add_f32_e32 v43, v94, v43                                // 000000004DF8: 0256575E
	v_add_f32_e32 v43, v95, v43                                // 000000004DFC: 0256575F
	v_add_f32_e32 v42, v43, v42                                // 000000004E00: 0254552B
	s_waitcnt lgkmcnt(0)                                       // 000000004E04: BF8CC07F
	v_max3_f32 v48, |v64|, |v65|, v48                          // 000000004E08: D1D30330 04C28340
	v_max3_f32 v48, |v66|, |v67|, v48                          // 000000004E10: D1D30330 04C28742
	v_max3_f32 v48, |v68|, |v69|, v48                          // 000000004E18: D1D30330 04C28B44
	v_max3_f32 v48, |v70|, |v71|, v48                          // 000000004E20: D1D30330 04C28F46
	v_max3_f32 v48, |v72|, |v73|, v48                          // 000000004E28: D1D30330 04C29348
	v_max3_f32 v48, |v74|, |v75|, v48                          // 000000004E30: D1D30330 04C2974A
	v_max3_f32 v48, |v76|, |v77|, v48                          // 000000004E38: D1D30330 04C29B4C
	v_max3_f32 v48, |v78|, |v79|, v48                          // 000000004E40: D1D30330 04C29F4E
	s_nop 2                                                    // 000000004E48: BF800002
	v_mov_b32_dpp v38, v48 row_ror:8 row_mask:0xf bank_mask:0xf// 000000004E4C: 7E4C02FA FF012830
	v_max_f32_e32 v48, v48, v38                                // 000000004E54: 16604D30
	v_rcp_f32_e32 v48, v48                                     // 000000004E58: 7E604530
	s_nop 1                                                    // 000000004E5C: BF800001
	v_mul_f32_e32 v48, 0x42fe0000, v48                         // 000000004E60: 0A6060FF 42FE0000
	v_mul_f32_e32 v88, v48, v116                               // 000000004E68: 0AB0E930
	v_mul_f32_e32 v89, v48, v117                               // 000000004E6C: 0AB2EB30
	v_mul_f32_e32 v90, v48, v118                               // 000000004E70: 0AB4ED30
	v_mul_f32_e32 v91, v48, v119                               // 000000004E74: 0AB6EF30
	v_mul_f32_e32 v92, v48, v120                               // 000000004E78: 0AB8F130
	v_mul_f32_e32 v93, v48, v121                               // 000000004E7C: 0ABAF330
	v_mul_f32_e32 v94, v48, v122                               // 000000004E80: 0ABCF530
	v_mul_f32_e32 v95, v48, v123                               // 000000004E84: 0ABEF730
	v_cvt_i32_f32_e32 v88, v88                                 // 000000004E88: 7EB01158
	v_cvt_i32_f32_e32 v89, v89                                 // 000000004E8C: 7EB21159
	v_cvt_i32_f32_e32 v90, v90                                 // 000000004E90: 7EB4115A
	v_cvt_i32_f32_e32 v91, v91                                 // 000000004E94: 7EB6115B
	v_cvt_i32_f32_e32 v92, v92                                 // 000000004E98: 7EB8115C
	v_cvt_i32_f32_e32 v93, v93                                 // 000000004E9C: 7EBA115D
	v_cvt_i32_f32_e32 v94, v94                                 // 000000004EA0: 7EBC115E
	v_cvt_i32_f32_e32 v95, v95                                 // 000000004EA4: 7EBE115F
	v_perm_b32 v88, v89, v88, s53                              // 000000004EA8: D1ED0058 00D6B159
	v_perm_b32 v88, v90, v88, s54                              // 000000004EB0: D1ED0058 00DAB15A
	v_perm_b32 v88, v91, v88, s55                              // 000000004EB8: D1ED0058 00DEB15B
	v_perm_b32 v89, v93, v92, s53                              // 000000004EC0: D1ED0059 00D6B95D
	v_perm_b32 v89, v94, v89, s54                              // 000000004EC8: D1ED0059 00DAB35E
	v_perm_b32 v89, v95, v89, s55                              // 000000004ED0: D1ED0059 00DEB35F
	ds_write_b32 v13, v88 offset:6272                          // 000000004ED8: D81A1880 0000580D
	ds_write_b32 v13, v89 offset:7296                          // 000000004EE0: D81A1C80 0000590D
	v_cvt_f32_i32_e32 v104, v104                               // 000000004EE8: 7ED00B68
	v_cvt_f32_i32_e32 v105, v105                               // 000000004EEC: 7ED20B69
	v_cvt_f32_i32_e32 v106, v106                               // 000000004EF0: 7ED40B6A
	v_cvt_f32_i32_e32 v107, v107                               // 000000004EF4: 7ED60B6B
	v_mul_f32_e32 v104, v47, v104                              // 000000004EF8: 0AD0D12F
	v_mul_f32_e32 v105, v47, v105                              // 000000004EFC: 0AD2D32F
	v_mul_f32_e32 v106, v47, v106                              // 000000004F00: 0AD4D52F
	v_mul_f32_e32 v107, v47, v107                              // 000000004F04: 0AD6D72F
	v_rcp_f32_e32 v47, v48                                     // 000000004F08: 7E5E4530
	s_waitcnt lgkmcnt(0)                                       // 000000004F0C: BF8CC07F
	s_barrier                                                  // 000000004F10: BF8A0000
	ds_read_b64 v[88:89], v12 offset:6272                      // 000000004F14: D8EC1880 5800000C
	ds_read_b64 v[90:91], v12 offset:6400                      // 000000004F1C: D8EC1900 5A00000C
	ds_read_b64 v[92:93], v12 offset:7296                      // 000000004F24: D8EC1C80 5C00000C
	ds_read_b64 v[94:95], v12 offset:7424                      // 000000004F2C: D8EC1D00 5E00000C
	v_add_f32_e32 v112, v112, v104                             // 000000004F34: 02E0D170
	v_add_f32_e32 v113, v113, v105                             // 000000004F38: 02E2D371
	v_add_f32_e32 v114, v114, v106                             // 000000004F3C: 02E4D572
	v_add_f32_e32 v115, v115, v107                             // 000000004F40: 02E6D773
	s_waitcnt lgkmcnt(3)                                       // 000000004F44: BF8CC37F
	v_mov_b32_dpp v96, v88 row_shl:8 row_mask:0xf bank_mask:0xf bound_ctrl:1// 000000004F48: 7EC002FA FF090858
	v_and_b32_e32 v88, v88, v9                                 // 000000004F50: 26B01358
	v_mov_b32_dpp v97, v89 row_shl:8 row_mask:0xf bank_mask:0xf bound_ctrl:1// 000000004F54: 7EC202FA FF090859
	v_and_b32_e32 v89, v89, v9                                 // 000000004F5C: 26B21359
	s_waitcnt lgkmcnt(2)                                       // 000000004F60: BF8CC27F
	v_mov_b32_dpp v98, v90 row_shl:8 row_mask:0xf bank_mask:0xf bound_ctrl:1// 000000004F64: 7EC402FA FF09085A
	v_and_b32_e32 v90, v90, v9                                 // 000000004F6C: 26B4135A
	v_mov_b32_dpp v99, v91 row_shl:8 row_mask:0xf bank_mask:0xf bound_ctrl:1// 000000004F70: 7EC602FA FF09085B
	v_and_b32_e32 v91, v91, v9                                 // 000000004F78: 26B6135B
	s_waitcnt lgkmcnt(1)                                       // 000000004F7C: BF8CC17F
	v_mov_b32_dpp v100, v92 row_shl:8 row_mask:0xf bank_mask:0xf bound_ctrl:1// 000000004F80: 7EC802FA FF09085C
	v_and_b32_e32 v92, v92, v9                                 // 000000004F88: 26B8135C
	v_mov_b32_dpp v101, v93 row_shl:8 row_mask:0xf bank_mask:0xf bound_ctrl:1// 000000004F8C: 7ECA02FA FF09085D
	v_and_b32_e32 v93, v93, v9                                 // 000000004F94: 26BA135D
	s_waitcnt lgkmcnt(0)                                       // 000000004F98: BF8CC07F
	v_mov_b32_dpp v102, v94 row_shl:8 row_mask:0xf bank_mask:0xf bound_ctrl:1// 000000004F9C: 7ECC02FA FF09085E
	v_and_b32_e32 v94, v94, v9                                 // 000000004FA4: 26BC135E
	v_mov_b32_dpp v103, v95 row_shl:8 row_mask:0xf bank_mask:0xf bound_ctrl:1// 000000004FA8: 7ECE02FA FF09085F
	v_and_b32_e32 v95, v95, v9                                 // 000000004FB0: 26BE135F
	s_waitcnt vmcnt(0)                                         // 000000004FB4: BF8C0F70
	s_barrier                                                  // 000000004FB8: BF8A0000
	v_mfma_i32_16x16x32_i8 v[104:107], a[64:65], v[88:89], 0   // 000000004FBC: D3D70068 0A02B140
	v_mfma_i32_16x16x32_i8 v[104:107], a[66:67], v[90:91], v[104:107]// 000000004FC4: D3D70068 0DA2B542
	v_mfma_i32_16x16x32_i8 v[104:107], a[68:69], v[92:93], v[104:107]// 000000004FCC: D3D70068 0DA2B944
	v_mfma_i32_16x16x32_i8 v[104:107], a[70:71], v[94:95], v[104:107]// 000000004FD4: D3D70068 0DA2BD46
	v_mfma_i32_16x16x32_i8 v[104:107], a[72:73], v[96:97], v[104:107]// 000000004FDC: D3D70068 0DA2C148
	v_mfma_i32_16x16x32_i8 v[104:107], a[74:75], v[98:99], v[104:107]// 000000004FE4: D3D70068 0DA2C54A
	v_mfma_i32_16x16x32_i8 v[104:107], a[76:77], v[100:101], v[104:107]// 000000004FEC: D3D70068 0DA2C94C
	v_mfma_i32_16x16x32_i8 v[104:107], a[78:79], v[102:103], v[104:107]// 000000004FF4: D3D70068 0DA2CD4E
	v_mfma_i32_16x16x32_i8 v[108:111], a[80:81], v[88:89], 0   // 000000004FFC: D3D7006C 0A02B150
	v_mfma_i32_16x16x32_i8 v[108:111], a[82:83], v[90:91], v[108:111]// 000000005004: D3D7006C 0DB2B552
	v_mfma_i32_16x16x32_i8 v[108:111], a[84:85], v[92:93], v[108:111]// 00000000500C: D3D7006C 0DB2B954
	v_mfma_i32_16x16x32_i8 v[108:111], a[86:87], v[94:95], v[108:111]// 000000005014: D3D7006C 0DB2BD56
	v_mfma_i32_16x16x32_i8 v[108:111], a[88:89], v[96:97], v[108:111]// 00000000501C: D3D7006C 0DB2C158
	v_mfma_i32_16x16x32_i8 v[108:111], a[90:91], v[98:99], v[108:111]// 000000005024: D3D7006C 0DB2C55A
	v_mfma_i32_16x16x32_i8 v[108:111], a[92:93], v[100:101], v[108:111]// 00000000502C: D3D7006C 0DB2C95C
	v_mfma_i32_16x16x32_i8 v[108:111], a[94:95], v[102:103], v[108:111]// 000000005034: D3D7006C 0DB2CD5E
	s_nop 4                                                    // 00000000503C: BF800004
	s_branch label_0DC6                                        // 000000005040: BF8201F5

0000000000005044 <label_0BD1>:
	s_waitcnt vmcnt(8) lgkmcnt(0)                              // 000000005044: BF8C0078
	s_barrier                                                  // 000000005048: BF8A0000
	v_mfma_i32_16x16x32_i8 v[88:91], a[32:33], v[80:81], 0     // 00000000504C: D3D70058 0A02A120
	v_mfma_i32_16x16x32_i8 v[88:91], a[34:35], v[82:83], v[88:91]// 000000005054: D3D70058 0D62A522
	v_mfma_i32_16x16x32_i8 v[88:91], a[36:37], v[84:85], v[88:91]// 00000000505C: D3D70058 0D62A924
	v_mfma_i32_16x16x32_i8 v[88:91], a[38:39], v[86:87], v[88:91]// 000000005064: D3D70058 0D62AD26
	v_mfma_i32_16x16x32_i8 v[92:95], a[40:41], v[80:81], 0     // 00000000506C: D3D7005C 0A02A128
	v_mfma_i32_16x16x32_i8 v[92:95], a[42:43], v[82:83], v[92:95]// 000000005074: D3D7005C 0D72A52A
	v_mfma_i32_16x16x32_i8 v[92:95], a[44:45], v[84:85], v[92:95]// 00000000507C: D3D7005C 0D72A92C
	v_mfma_i32_16x16x32_i8 v[92:95], a[46:47], v[86:87], v[92:95]// 000000005084: D3D7005C 0D72AD2E
	v_mfma_i32_16x16x32_i8 v[96:99], a[48:49], v[80:81], 0     // 00000000508C: D3D70060 0A02A130
	v_mfma_i32_16x16x32_i8 v[96:99], a[50:51], v[82:83], v[96:99]// 000000005094: D3D70060 0D82A532
	v_mfma_i32_16x16x32_i8 v[96:99], a[52:53], v[84:85], v[96:99]// 00000000509C: D3D70060 0D82A934
	v_mfma_i32_16x16x32_i8 v[96:99], a[54:55], v[86:87], v[96:99]// 0000000050A4: D3D70060 0D82AD36
	v_mfma_i32_16x16x32_i8 v[100:103], a[56:57], v[80:81], 0   // 0000000050AC: D3D70064 0A02A138
	v_mfma_i32_16x16x32_i8 v[100:103], a[58:59], v[82:83], v[100:103]// 0000000050B4: D3D70064 0D92A53A
	v_mfma_i32_16x16x32_i8 v[100:103], a[60:61], v[84:85], v[100:103]// 0000000050BC: D3D70064 0D92A93C
	v_mfma_i32_16x16x32_i8 v[100:103], a[62:63], v[86:87], v[100:103]// 0000000050C4: D3D70064 0D92AD3E
	v_mov_b32_dpp v38, v45 row_shr:4 row_mask:0xf bank_mask:0xf// 0000000050CC: 7E4C02FA FF01142D
	v_mov_b32_dpp v39, v45 row_shl:4 row_mask:0xf bank_mask:0xf// 0000000050D4: 7E4E02FA FF01042D
	v_cndmask_b32_e64 v124, v45, v38, s[44:45]                 // 0000000050DC: D100007C 00B24D2D
	v_cndmask_b32_e64 v125, v39, v45, s[44:45]                 // 0000000050E4: D100007D 00B25B27
	v_mov_b32_dpp v38, v56 row_shr:4 row_mask:0xf bank_mask:0xf// 0000000050EC: 7E4C02FA FF011438
	v_mov_b32_dpp v39, v56 row_shl:4 row_mask:0xf bank_mask:0xf// 0000000050F4: 7E4E02FA FF010438
	v_cndmask_b32_e64 v126, v56, v38, s[44:45]                 // 0000000050FC: D100007E 00B24D38
	v_cndmask_b32_e64 v127, v39, v56, s[44:45]                 // 000000005104: D100007F 00B27127
	v_or_b32_dpp v88, v96, v88 row_shr:8 row_mask:0xf bank_mask:0xf bound_ctrl:1// 00000000510C: 28B0B0FA FF091860
	v_or_b32_dpp v89, v97, v89 row_shr:8 row_mask:0xf bank_mask:0xf bound_ctrl:1// 000000005114: 28B2B2FA FF091861
	v_or_b32_dpp v90, v98, v90 row_shr:8 row_mask:0xf bank_mask:0xf bound_ctrl:1// 00000000511C: 28B4B4FA FF091862
	v_or_b32_dpp v91, v99, v91 row_shr:8 row_mask:0xf bank_mask:0xf bound_ctrl:1// 000000005124: 28B6B6FA FF091863
	v_or_b32_dpp v92, v100, v92 row_shr:8 row_mask:0xf bank_mask:0xf bound_ctrl:1// 00000000512C: 28B8B8FA FF091864
	v_or_b32_dpp v93, v101, v93 row_shr:8 row_mask:0xf bank_mask:0xf bound_ctrl:1// 000000005134: 28BABAFA FF091865
	v_or_b32_dpp v94, v102, v94 row_shr:8 row_mask:0xf bank_mask:0xf bound_ctrl:1// 00000000513C: 28BCBCFA FF091866
	v_or_b32_dpp v95, v103, v95 row_shr:8 row_mask:0xf bank_mask:0xf bound_ctrl:1// 000000005144: 28BEBEFA FF091867
	v_cvt_f32_i32_e32 v88, v88                                 // 00000000514C: 7EB00B58
	v_cvt_f32_i32_e32 v89, v89                                 // 000000005150: 7EB20B59
	v_cvt_f32_i32_e32 v90, v90                                 // 000000005154: 7EB40B5A
	v_cvt_f32_i32_e32 v91, v91                                 // 000000005158: 7EB60B5B
	v_cvt_f32_i32_e32 v92, v92                                 // 00000000515C: 7EB80B5C
	v_cvt_f32_i32_e32 v93, v93                                 // 000000005160: 7EBA0B5D
	v_cvt_f32_i32_e32 v94, v94                                 // 000000005164: 7EBC0B5E
	v_cvt_f32_i32_e32 v95, v95                                 // 000000005168: 7EBE0B5F
	v_mul_f32_e32 v88, v46, v88                                // 00000000516C: 0AB0B12E
	v_mul_f32_e32 v89, v46, v89                                // 000000005170: 0AB2B32E
	v_mul_f32_e32 v90, v46, v90                                // 000000005174: 0AB4B52E
	v_mul_f32_e32 v91, v46, v91                                // 000000005178: 0AB6B72E
	v_mul_f32_e32 v92, v46, v92                                // 00000000517C: 0AB8B92E
	v_mul_f32_e32 v93, v46, v93                                // 000000005180: 0ABABB2E
	v_mul_f32_e32 v94, v46, v94                                // 000000005184: 0ABCBD2E
	v_mul_f32_e32 v95, v46, v95                                // 000000005188: 0ABEBF2E
	v_mul_f32_dpp v88, v124, v88 quad_perm:[0,0,0,0] row_mask:0xf bank_mask:0xf// 00000000518C: 0AB0B0FA FF00007C
	v_mul_f32_dpp v89, v124, v89 quad_perm:[1,1,1,1] row_mask:0xf bank_mask:0xf// 000000005194: 0AB2B2FA FF00557C
	v_mul_f32_dpp v90, v124, v90 quad_perm:[2,2,2,2] row_mask:0xf bank_mask:0xf// 00000000519C: 0AB4B4FA FF00AA7C
	v_mul_f32_dpp v91, v124, v91 quad_perm:[3,3,3,3] row_mask:0xf bank_mask:0xf// 0000000051A4: 0AB6B6FA FF00FF7C
	v_mul_f32_dpp v92, v125, v92 quad_perm:[0,0,0,0] row_mask:0xf bank_mask:0xf// 0000000051AC: 0AB8B8FA FF00007D
	v_mul_f32_dpp v93, v125, v93 quad_perm:[1,1,1,1] row_mask:0xf bank_mask:0xf// 0000000051B4: 0ABABAFA FF00557D
	v_mul_f32_dpp v94, v125, v94 quad_perm:[2,2,2,2] row_mask:0xf bank_mask:0xf// 0000000051BC: 0ABCBCFA FF00AA7D
	v_mul_f32_dpp v95, v125, v95 quad_perm:[3,3,3,3] row_mask:0xf bank_mask:0xf// 0000000051C4: 0ABEBEFA FF00FF7D
	s_and_b32 s60, s72, 0xff                                   // 0000000051CC: 863CFF48 000000FF
	v_mov_b32_e32 v62, s60                                     // 0000000051D4: 7E7C023C
	v_lshrrev_b32_e32 v116, 4, v0                              // 0000000051D8: 20E80084
	v_mul_i32_i24_e32 v116, 4, v116                            // 0000000051DC: 0CE8E884
	v_and_b32_e32 v38, 15, v0                                  // 0000000051E0: 264C008F
	v_lshrrev_b32_e32 v38, 3, v38                              // 0000000051E4: 204C4C83
	v_mul_i32_i24_e32 v38, 0x80, v38                           // 0000000051E8: 0C4C4CFF 00000080
	v_add_u32_e32 v116, v38, v116                              // 0000000051F0: 68E8E926
	s_mul_i32 s60, s7, 16                                      // 0000000051F4: 923C9007
	v_add_u32_e32 v116, s60, v116                              // 0000000051F8: 68E8E83C
	v_add_u32_e32 v117, 1, v116                                // 0000000051FC: 68EAE881
	v_add_u32_e32 v118, 2, v116                                // 000000005200: 68ECE882
	v_add_u32_e32 v119, 3, v116                                // 000000005204: 68EEE883
	v_cmp_lt_u32_e64 s[40:41], v116, v62                       // 000000005208: D0C90028 00027D74
	v_add_u32_e32 v116, 64, v116                               // 000000005210: 68E8E8C0
	s_nop 0                                                    // 000000005214: BF800000
	v_cndmask_b32_e64 v88, v52, v88, s[40:41]                  // 000000005218: D1000058 00A2B134
	v_cmp_lt_u32_e64 s[40:41], v117, v62                       // 000000005220: D0C90028 00027D75
	v_add_u32_e32 v117, 64, v117                               // 000000005228: 68EAEAC0
	s_nop 0                                                    // 00000000522C: BF800000
	v_cndmask_b32_e64 v89, v52, v89, s[40:41]                  // 000000005230: D1000059 00A2B334
	v_cmp_lt_u32_e64 s[40:41], v118, v62                       // 000000005238: D0C90028 00027D76
	v_add_u32_e32 v118, 64, v118                               // 000000005240: 68ECECC0
	s_nop 0                                                    // 000000005244: BF800000
	v_cndmask_b32_e64 v90, v52, v90, s[40:41]                  // 000000005248: D100005A 00A2B534
	v_cmp_lt_u32_e64 s[40:41], v119, v62                       // 000000005250: D0C90028 00027D77
	v_add_u32_e32 v119, 64, v119                               // 000000005258: 68EEEEC0
	s_nop 0                                                    // 00000000525C: BF800000
	v_cndmask_b32_e64 v91, v52, v91, s[40:41]                  // 000000005260: D100005B 00A2B734
	v_cmp_lt_u32_e64 s[40:41], v116, v62                       // 000000005268: D0C90028 00027D74
	v_add_u32_e32 v116, 64, v116                               // 000000005270: 68E8E8C0
	s_nop 0                                                    // 000000005274: BF800000
	v_cndmask_b32_e64 v92, v52, v92, s[40:41]                  // 000000005278: D100005C 00A2B934
	v_cmp_lt_u32_e64 s[40:41], v117, v62                       // 000000005280: D0C90028 00027D75
	v_add_u32_e32 v117, 64, v117                               // 000000005288: 68EAEAC0
	s_nop 0                                                    // 00000000528C: BF800000
	v_cndmask_b32_e64 v93, v52, v93, s[40:41]                  // 000000005290: D100005D 00A2BB34
	v_cmp_lt_u32_e64 s[40:41], v118, v62                       // 000000005298: D0C90028 00027D76
	v_add_u32_e32 v118, 64, v118                               // 0000000052A0: 68ECECC0
	s_nop 0                                                    // 0000000052A4: BF800000
	v_cndmask_b32_e64 v94, v52, v94, s[40:41]                  // 0000000052A8: D100005E 00A2BD34
	v_cmp_lt_u32_e64 s[40:41], v119, v62                       // 0000000052B0: D0C90028 00027D77
	v_add_u32_e32 v119, 64, v119                               // 0000000052B8: 68EEEEC0
	s_nop 0                                                    // 0000000052BC: BF800000
	v_cndmask_b32_e64 v95, v52, v95, s[40:41]                  // 0000000052C0: D100005F 00A2BF34
	v_mov_b32_e32 v48, v88                                     // 0000000052C8: 7E600358
	v_max3_f32 v48, v88, v89, v48                              // 0000000052CC: D1D30030 04C2B358
	v_max3_f32 v48, v90, v91, v48                              // 0000000052D4: D1D30030 04C2B75A
	v_max3_f32 v48, v92, v93, v48                              // 0000000052DC: D1D30030 04C2BB5C
	v_max3_f32 v48, v94, v95, v48                              // 0000000052E4: D1D30030 04C2BF5E
	ds_write_b32 v11, v48 offset:4224                          // 0000000052EC: D81A1080 0000300B
	v_mul_u32_u24_dpp v38, v16, v51 row_newbcast:1 row_mask:0xf bank_mask:0xf// 0000000052F4: 104C66FA FF015110
	v_mul_u32_u24_dpp v39, v16, v51 row_newbcast:5 row_mask:0xf bank_mask:0xf// 0000000052FC: 104E66FA FF015510
	v_mul_u32_u24_dpp v40, v16, v51 row_newbcast:9 row_mask:0xf bank_mask:0xf// 000000005304: 105066FA FF015910
	v_mul_u32_u24_dpp v41, v16, v51 row_newbcast:13 row_mask:0xf bank_mask:0xf// 00000000530C: 105266FA FF015D10
	v_add_u32_e32 v30, v38, v7                                 // 000000005314: 683C0F26
	v_add_u32_e32 v31, v39, v7                                 // 000000005318: 683E0F27
	v_add_u32_e32 v32, v40, v7                                 // 00000000531C: 68400F28
	v_add_u32_e32 v33, v41, v7                                 // 000000005320: 68420F29
	s_waitcnt lgkmcnt(0)                                       // 000000005324: BF8CC07F
	s_barrier                                                  // 000000005328: BF8A0000
	ds_read_b32 v64, v10 offset:4224                           // 00000000532C: D86C1080 4000000A
	ds_read_b32 v65, v10 offset:4288                           // 000000005334: D86C10C0 4100000A
	ds_read_b32 v66, v10 offset:4352                           // 00000000533C: D86C1100 4200000A
	ds_read_b32 v67, v10 offset:4416                           // 000000005344: D86C1140 4300000A
	ds_read_b32 v68, v10 offset:4480                           // 00000000534C: D86C1180 4400000A
	ds_read_b32 v69, v10 offset:4544                           // 000000005354: D86C11C0 4500000A
	ds_read_b32 v70, v10 offset:4608                           // 00000000535C: D86C1200 4600000A
	ds_read_b32 v71, v10 offset:4672                           // 000000005364: D86C1240 4700000A
	ds_read_b32 v72, v10 offset:4736                           // 00000000536C: D86C1280 4800000A
	ds_read_b32 v73, v10 offset:4800                           // 000000005374: D86C12C0 4900000A
	ds_read_b32 v74, v10 offset:4864                           // 00000000537C: D86C1300 4A00000A
	ds_read_b32 v75, v10 offset:4928                           // 000000005384: D86C1340 4B00000A
	ds_read_b32 v76, v10 offset:4992                           // 00000000538C: D86C1380 4C00000A
	ds_read_b32 v77, v10 offset:5056                           // 000000005394: D86C13C0 4D00000A
	ds_read_b32 v78, v10 offset:5120                           // 00000000539C: D86C1400 4E00000A
	ds_read_b32 v79, v10 offset:5184                           // 0000000053A4: D86C1440 4F00000A
	v_mul_f32_e32 v112, v49, v112                              // 0000000053AC: 0AE0E131
	v_mul_f32_e32 v113, v49, v113                              // 0000000053B0: 0AE2E331
	v_mul_f32_e32 v114, v49, v114                              // 0000000053B4: 0AE4E531
	v_mul_f32_e32 v115, v49, v115                              // 0000000053B8: 0AE6E731
	v_or_b32_dpp v104, v108, v104 row_shr:8 row_mask:0xf bank_mask:0xf bound_ctrl:1// 0000000053BC: 28D0D0FA FF09186C
	v_or_b32_dpp v105, v109, v105 row_shr:8 row_mask:0xf bank_mask:0xf bound_ctrl:1// 0000000053C4: 28D2D2FA FF09186D
	v_or_b32_dpp v106, v110, v106 row_shr:8 row_mask:0xf bank_mask:0xf bound_ctrl:1// 0000000053CC: 28D4D4FA FF09186E
	v_or_b32_dpp v107, v111, v107 row_shr:8 row_mask:0xf bank_mask:0xf bound_ctrl:1// 0000000053D4: 28D6D6FA FF09186F
	s_waitcnt lgkmcnt(0)                                       // 0000000053DC: BF8CC07F
	v_max3_f32 v48, v64, v65, v48                              // 0000000053E0: D1D30030 04C28340
	v_max3_f32 v48, v66, v67, v48                              // 0000000053E8: D1D30030 04C28742
	v_max3_f32 v48, v68, v69, v48                              // 0000000053F0: D1D30030 04C28B44
	v_max3_f32 v48, v70, v71, v48                              // 0000000053F8: D1D30030 04C28F46
	v_max3_f32 v48, v72, v73, v48                              // 000000005400: D1D30030 04C29348
	v_max3_f32 v48, v74, v75, v48                              // 000000005408: D1D30030 04C2974A
	v_max3_f32 v48, v76, v77, v48                              // 000000005410: D1D30030 04C29B4C
	v_max3_f32 v48, v78, v79, v48                              // 000000005418: D1D30030 04C29F4E
	v_cmp_eq_u32_e64 s[40:41], v52, v14                        // 000000005420: D0CA0028 00021D34
	s_nop 1                                                    // 000000005428: BF800001
	v_mov_b32_dpp v38, v48 row_ror:8 row_mask:0xf bank_mask:0xf// 00000000542C: 7E4C02FA FF012830
	v_max_f32_e32 v48, v48, v38                                // 000000005434: 16604D30
	v_max_f32_e32 v15, v48, v14                                // 000000005438: 161E1D30
	v_mul_f32_e32 v50, s64, v15                                // 00000000543C: 0A641E40
	v_fma_f32 v88, v88, s64, -v50                              // 000000005440: D1CB0058 84C88158
	v_fma_f32 v89, v89, s64, -v50                              // 000000005448: D1CB0059 84C88159
	v_fma_f32 v90, v90, s64, -v50                              // 000000005450: D1CB005A 84C8815A
	v_fma_f32 v91, v91, s64, -v50                              // 000000005458: D1CB005B 84C8815B
	v_fma_f32 v92, v92, s64, -v50                              // 000000005460: D1CB005C 84C8815C
	v_fma_f32 v93, v93, s64, -v50                              // 000000005468: D1CB005D 84C8815D
	v_fma_f32 v94, v94, s64, -v50                              // 000000005470: D1CB005E 84C8815E
	v_fma_f32 v95, v95, s64, -v50                              // 000000005478: D1CB005F 84C8815F
	v_exp_f32_e32 v88, v88                                     // 000000005480: 7EB04158
	v_exp_f32_e32 v89, v89                                     // 000000005484: 7EB24159
	v_exp_f32_e32 v90, v90                                     // 000000005488: 7EB4415A
	v_exp_f32_e32 v91, v91                                     // 00000000548C: 7EB6415B
	v_exp_f32_e32 v92, v92                                     // 000000005490: 7EB8415C
	v_exp_f32_e32 v93, v93                                     // 000000005494: 7EBA415D
	v_exp_f32_e32 v94, v94                                     // 000000005498: 7EBC415E
	v_exp_f32_e32 v95, v95                                     // 00000000549C: 7EBE415F
	v_mul_f32_dpp v116, v126, v88 quad_perm:[0,0,0,0] row_mask:0xf bank_mask:0xf// 0000000054A0: 0AE8B0FA FF00007E
	v_mul_f32_dpp v117, v126, v89 quad_perm:[1,1,1,1] row_mask:0xf bank_mask:0xf// 0000000054A8: 0AEAB2FA FF00557E
	v_mul_f32_dpp v118, v126, v90 quad_perm:[2,2,2,2] row_mask:0xf bank_mask:0xf// 0000000054B0: 0AECB4FA FF00AA7E
	v_mul_f32_dpp v119, v126, v91 quad_perm:[3,3,3,3] row_mask:0xf bank_mask:0xf// 0000000054B8: 0AEEB6FA FF00FF7E
	v_mul_f32_dpp v120, v127, v92 quad_perm:[0,0,0,0] row_mask:0xf bank_mask:0xf// 0000000054C0: 0AF0B8FA FF00007F
	v_mul_f32_dpp v121, v127, v93 quad_perm:[1,1,1,1] row_mask:0xf bank_mask:0xf// 0000000054C8: 0AF2BAFA FF00557F
	v_mul_f32_dpp v122, v127, v94 quad_perm:[2,2,2,2] row_mask:0xf bank_mask:0xf// 0000000054D0: 0AF4BCFA FF00AA7F
	v_mul_f32_dpp v123, v127, v95 quad_perm:[3,3,3,3] row_mask:0xf bank_mask:0xf// 0000000054D8: 0AF6BEFA FF00FF7F
	v_mov_b32_e32 v48, 0x358637bd                              // 0000000054E0: 7E6002FF 358637BD
	v_max3_f32 v48, |v116|, |v117|, v48                        // 0000000054E8: D1D30330 04C2EB74
	v_max3_f32 v48, |v118|, |v119|, v48                        // 0000000054F0: D1D30330 04C2EF76
	v_max3_f32 v48, |v120|, |v121|, v48                        // 0000000054F8: D1D30330 04C2F378
	v_max3_f32 v48, |v122|, |v123|, v48                        // 000000005500: D1D30330 04C2F77A
	ds_write_b32 v11, v48 offset:5248                          // 000000005508: D81A1480 0000300B
	v_sub_f32_e32 v49, v14, v15                                // 000000005510: 04621F0E
	v_cndmask_b32_e64 v49, v49, 0, s[40:41]                    // 000000005514: D1000031 00A10131
	v_mov_b32_e32 v14, v15                                     // 00000000551C: 7E1C030F
	v_mul_f32_e32 v49, s64, v49                                // 000000005520: 0A626240
	v_exp_f32_e32 v49, v49                                     // 000000005524: 7E624131
	s_waitcnt lgkmcnt(0)                                       // 000000005528: BF8CC07F
	s_barrier                                                  // 00000000552C: BF8A0000
	ds_read_b32 v64, v10 offset:5248                           // 000000005530: D86C1480 4000000A
	ds_read_b32 v65, v10 offset:5312                           // 000000005538: D86C14C0 4100000A
	ds_read_b32 v66, v10 offset:5376                           // 000000005540: D86C1500 4200000A
	ds_read_b32 v67, v10 offset:5440                           // 000000005548: D86C1540 4300000A
	ds_read_b32 v68, v10 offset:5504                           // 000000005550: D86C1580 4400000A
	ds_read_b32 v69, v10 offset:5568                           // 000000005558: D86C15C0 4500000A
	ds_read_b32 v70, v10 offset:5632                           // 000000005560: D86C1600 4600000A
	ds_read_b32 v71, v10 offset:5696                           // 000000005568: D86C1640 4700000A
	ds_read_b32 v72, v10 offset:5760                           // 000000005570: D86C1680 4800000A
	ds_read_b32 v73, v10 offset:5824                           // 000000005578: D86C16C0 4900000A
	ds_read_b32 v74, v10 offset:5888                           // 000000005580: D86C1700 4A00000A
	ds_read_b32 v75, v10 offset:5952                           // 000000005588: D86C1740 4B00000A
	ds_read_b32 v76, v10 offset:6016                           // 000000005590: D86C1780 4C00000A
	ds_read_b32 v77, v10 offset:6080                           // 000000005598: D86C17C0 4D00000A
	ds_read_b32 v78, v10 offset:6144                           // 0000000055A0: D86C1800 4E00000A
	ds_read_b32 v79, v10 offset:6208                           // 0000000055A8: D86C1840 4F00000A
	v_mul_f32_e32 v42, v49, v42                                // 0000000055B0: 0A545531
	v_mov_b32_e32 v43, v88                                     // 0000000055B4: 7E560358
	v_add_f32_e32 v43, v89, v43                                // 0000000055B8: 02565759
	v_add_f32_e32 v43, v90, v43                                // 0000000055BC: 0256575A
	v_add_f32_e32 v43, v91, v43                                // 0000000055C0: 0256575B
	v_add_f32_e32 v43, v92, v43                                // 0000000055C4: 0256575C
	v_add_f32_e32 v43, v93, v43                                // 0000000055C8: 0256575D
	v_add_f32_e32 v43, v94, v43                                // 0000000055CC: 0256575E
	v_add_f32_e32 v43, v95, v43                                // 0000000055D0: 0256575F
	v_add_f32_e32 v42, v43, v42                                // 0000000055D4: 0254552B
	s_waitcnt lgkmcnt(0)                                       // 0000000055D8: BF8CC07F
	v_max3_f32 v48, |v64|, |v65|, v48                          // 0000000055DC: D1D30330 04C28340
	v_max3_f32 v48, |v66|, |v67|, v48                          // 0000000055E4: D1D30330 04C28742
	v_max3_f32 v48, |v68|, |v69|, v48                          // 0000000055EC: D1D30330 04C28B44
	v_max3_f32 v48, |v70|, |v71|, v48                          // 0000000055F4: D1D30330 04C28F46
	v_max3_f32 v48, |v72|, |v73|, v48                          // 0000000055FC: D1D30330 04C29348
	v_max3_f32 v48, |v74|, |v75|, v48                          // 000000005604: D1D30330 04C2974A
	v_max3_f32 v48, |v76|, |v77|, v48                          // 00000000560C: D1D30330 04C29B4C
	v_max3_f32 v48, |v78|, |v79|, v48                          // 000000005614: D1D30330 04C29F4E
	s_nop 2                                                    // 00000000561C: BF800002
	v_mov_b32_dpp v38, v48 row_ror:8 row_mask:0xf bank_mask:0xf// 000000005620: 7E4C02FA FF012830
	v_max_f32_e32 v48, v48, v38                                // 000000005628: 16604D30
	v_rcp_f32_e32 v48, v48                                     // 00000000562C: 7E604530
	s_nop 1                                                    // 000000005630: BF800001
	v_mul_f32_e32 v48, 0x42fe0000, v48                         // 000000005634: 0A6060FF 42FE0000
	v_mul_f32_e32 v88, v48, v116                               // 00000000563C: 0AB0E930
	v_mul_f32_e32 v89, v48, v117                               // 000000005640: 0AB2EB30
	v_mul_f32_e32 v90, v48, v118                               // 000000005644: 0AB4ED30
	v_mul_f32_e32 v91, v48, v119                               // 000000005648: 0AB6EF30
	v_mul_f32_e32 v92, v48, v120                               // 00000000564C: 0AB8F130
	v_mul_f32_e32 v93, v48, v121                               // 000000005650: 0ABAF330
	v_mul_f32_e32 v94, v48, v122                               // 000000005654: 0ABCF530
	v_mul_f32_e32 v95, v48, v123                               // 000000005658: 0ABEF730
	v_cvt_i32_f32_e32 v88, v88                                 // 00000000565C: 7EB01158
	v_cvt_i32_f32_e32 v89, v89                                 // 000000005660: 7EB21159
	v_cvt_i32_f32_e32 v90, v90                                 // 000000005664: 7EB4115A
	v_cvt_i32_f32_e32 v91, v91                                 // 000000005668: 7EB6115B
	v_cvt_i32_f32_e32 v92, v92                                 // 00000000566C: 7EB8115C
	v_cvt_i32_f32_e32 v93, v93                                 // 000000005670: 7EBA115D
	v_cvt_i32_f32_e32 v94, v94                                 // 000000005674: 7EBC115E
	v_cvt_i32_f32_e32 v95, v95                                 // 000000005678: 7EBE115F
	v_perm_b32 v88, v89, v88, s53                              // 00000000567C: D1ED0058 00D6B159
	v_perm_b32 v88, v90, v88, s54                              // 000000005684: D1ED0058 00DAB15A
	v_perm_b32 v88, v91, v88, s55                              // 00000000568C: D1ED0058 00DEB15B
	v_perm_b32 v89, v93, v92, s53                              // 000000005694: D1ED0059 00D6B95D
	v_perm_b32 v89, v94, v89, s54                              // 00000000569C: D1ED0059 00DAB35E
	v_perm_b32 v89, v95, v89, s55                              // 0000000056A4: D1ED0059 00DEB35F
	ds_write_b32 v13, v88 offset:6272                          // 0000000056AC: D81A1880 0000580D
	ds_write_b32 v13, v89 offset:7296                          // 0000000056B4: D81A1C80 0000590D
	v_cvt_f32_i32_e32 v104, v104                               // 0000000056BC: 7ED00B68
	v_cvt_f32_i32_e32 v105, v105                               // 0000000056C0: 7ED20B69
	v_cvt_f32_i32_e32 v106, v106                               // 0000000056C4: 7ED40B6A
	v_cvt_f32_i32_e32 v107, v107                               // 0000000056C8: 7ED60B6B
	v_mul_f32_e32 v104, v47, v104                              // 0000000056CC: 0AD0D12F
	v_mul_f32_e32 v105, v47, v105                              // 0000000056D0: 0AD2D32F
	v_mul_f32_e32 v106, v47, v106                              // 0000000056D4: 0AD4D52F
	v_mul_f32_e32 v107, v47, v107                              // 0000000056D8: 0AD6D72F
	v_rcp_f32_e32 v47, v48                                     // 0000000056DC: 7E5E4530
	s_waitcnt lgkmcnt(0)                                       // 0000000056E0: BF8CC07F
	s_barrier                                                  // 0000000056E4: BF8A0000
	ds_read_b64 v[88:89], v12 offset:6272                      // 0000000056E8: D8EC1880 5800000C
	ds_read_b64 v[90:91], v12 offset:6400                      // 0000000056F0: D8EC1900 5A00000C
	ds_read_b64 v[92:93], v12 offset:7296                      // 0000000056F8: D8EC1C80 5C00000C
	ds_read_b64 v[94:95], v12 offset:7424                      // 000000005700: D8EC1D00 5E00000C
	v_add_f32_e32 v112, v112, v104                             // 000000005708: 02E0D170
	v_add_f32_e32 v113, v113, v105                             // 00000000570C: 02E2D371
	v_add_f32_e32 v114, v114, v106                             // 000000005710: 02E4D572
	v_add_f32_e32 v115, v115, v107                             // 000000005714: 02E6D773
	s_waitcnt lgkmcnt(3)                                       // 000000005718: BF8CC37F
	v_mov_b32_dpp v96, v88 row_shl:8 row_mask:0xf bank_mask:0xf bound_ctrl:1// 00000000571C: 7EC002FA FF090858
	v_and_b32_e32 v88, v88, v9                                 // 000000005724: 26B01358
	v_mov_b32_dpp v97, v89 row_shl:8 row_mask:0xf bank_mask:0xf bound_ctrl:1// 000000005728: 7EC202FA FF090859
	v_and_b32_e32 v89, v89, v9                                 // 000000005730: 26B21359
	s_waitcnt lgkmcnt(2)                                       // 000000005734: BF8CC27F
	v_mov_b32_dpp v98, v90 row_shl:8 row_mask:0xf bank_mask:0xf bound_ctrl:1// 000000005738: 7EC402FA FF09085A
	v_and_b32_e32 v90, v90, v9                                 // 000000005740: 26B4135A
	v_mov_b32_dpp v99, v91 row_shl:8 row_mask:0xf bank_mask:0xf bound_ctrl:1// 000000005744: 7EC602FA FF09085B
	v_and_b32_e32 v91, v91, v9                                 // 00000000574C: 26B6135B
	s_waitcnt lgkmcnt(1)                                       // 000000005750: BF8CC17F
	v_mov_b32_dpp v100, v92 row_shl:8 row_mask:0xf bank_mask:0xf bound_ctrl:1// 000000005754: 7EC802FA FF09085C
	v_and_b32_e32 v92, v92, v9                                 // 00000000575C: 26B8135C
	v_mov_b32_dpp v101, v93 row_shl:8 row_mask:0xf bank_mask:0xf bound_ctrl:1// 000000005760: 7ECA02FA FF09085D
	v_and_b32_e32 v93, v93, v9                                 // 000000005768: 26BA135D
	s_waitcnt lgkmcnt(0)                                       // 00000000576C: BF8CC07F
	v_mov_b32_dpp v102, v94 row_shl:8 row_mask:0xf bank_mask:0xf bound_ctrl:1// 000000005770: 7ECC02FA FF09085E
	v_and_b32_e32 v94, v94, v9                                 // 000000005778: 26BC135E
	v_mov_b32_dpp v103, v95 row_shl:8 row_mask:0xf bank_mask:0xf bound_ctrl:1// 00000000577C: 7ECE02FA FF09085F
	v_and_b32_e32 v95, v95, v9                                 // 000000005784: 26BE135F
	s_waitcnt vmcnt(0)                                         // 000000005788: BF8C0F70
	s_barrier                                                  // 00000000578C: BF8A0000
	v_mfma_i32_16x16x32_i8 v[104:107], a[96:97], v[88:89], 0   // 000000005790: D3D70068 0A02B160
	v_mfma_i32_16x16x32_i8 v[104:107], a[98:99], v[90:91], v[104:107]// 000000005798: D3D70068 0DA2B562
	v_mfma_i32_16x16x32_i8 v[104:107], a[100:101], v[92:93], v[104:107]// 0000000057A0: D3D70068 0DA2B964
	v_mfma_i32_16x16x32_i8 v[104:107], a[102:103], v[94:95], v[104:107]// 0000000057A8: D3D70068 0DA2BD66
	v_mfma_i32_16x16x32_i8 v[104:107], a[104:105], v[96:97], v[104:107]// 0000000057B0: D3D70068 0DA2C168
	v_mfma_i32_16x16x32_i8 v[104:107], a[106:107], v[98:99], v[104:107]// 0000000057B8: D3D70068 0DA2C56A
	v_mfma_i32_16x16x32_i8 v[104:107], a[108:109], v[100:101], v[104:107]// 0000000057C0: D3D70068 0DA2C96C
	v_mfma_i32_16x16x32_i8 v[104:107], a[110:111], v[102:103], v[104:107]// 0000000057C8: D3D70068 0DA2CD6E
	v_mfma_i32_16x16x32_i8 v[108:111], a[112:113], v[88:89], 0 // 0000000057D0: D3D7006C 0A02B170
	v_mfma_i32_16x16x32_i8 v[108:111], a[114:115], v[90:91], v[108:111]// 0000000057D8: D3D7006C 0DB2B572
	v_mfma_i32_16x16x32_i8 v[108:111], a[116:117], v[92:93], v[108:111]// 0000000057E0: D3D7006C 0DB2B974
	v_mfma_i32_16x16x32_i8 v[108:111], a[118:119], v[94:95], v[108:111]// 0000000057E8: D3D7006C 0DB2BD76
	v_mfma_i32_16x16x32_i8 v[108:111], a[120:121], v[96:97], v[108:111]// 0000000057F0: D3D7006C 0DB2C178
	v_mfma_i32_16x16x32_i8 v[108:111], a[122:123], v[98:99], v[108:111]// 0000000057F8: D3D7006C 0DB2C57A
	v_mfma_i32_16x16x32_i8 v[108:111], a[124:125], v[100:101], v[108:111]// 000000005800: D3D7006C 0DB2C97C
	v_mfma_i32_16x16x32_i8 v[108:111], a[126:127], v[102:103], v[108:111]// 000000005808: D3D7006C 0DB2CD7E
	s_nop 4                                                    // 000000005810: BF800004
	s_branch label_0DC6                                        // 000000005814: BF820000

0000000000005818 <label_0DC6>:
	v_mul_f32_e32 v112, v49, v112                              // 000000005818: 0AE0E131
	v_mul_f32_e32 v113, v49, v113                              // 00000000581C: 0AE2E331
	v_mul_f32_e32 v114, v49, v114                              // 000000005820: 0AE4E531
	v_mul_f32_e32 v115, v49, v115                              // 000000005824: 0AE6E731
	v_or_b32_dpp v104, v108, v104 row_shr:8 row_mask:0xf bank_mask:0xf bound_ctrl:1// 000000005828: 28D0D0FA FF09186C
	v_or_b32_dpp v105, v109, v105 row_shr:8 row_mask:0xf bank_mask:0xf bound_ctrl:1// 000000005830: 28D2D2FA FF09186D
	v_or_b32_dpp v106, v110, v106 row_shr:8 row_mask:0xf bank_mask:0xf bound_ctrl:1// 000000005838: 28D4D4FA FF09186E
	v_or_b32_dpp v107, v111, v107 row_shr:8 row_mask:0xf bank_mask:0xf bound_ctrl:1// 000000005840: 28D6D6FA FF09186F
	v_cvt_f32_i32_e32 v104, v104                               // 000000005848: 7ED00B68
	v_cvt_f32_i32_e32 v105, v105                               // 00000000584C: 7ED20B69
	v_cvt_f32_i32_e32 v106, v106                               // 000000005850: 7ED40B6A
	v_cvt_f32_i32_e32 v107, v107                               // 000000005854: 7ED60B6B
	v_mul_f32_e32 v104, v47, v104                              // 000000005858: 0AD0D12F
	v_mul_f32_e32 v105, v47, v105                              // 00000000585C: 0AD2D32F
	v_mul_f32_e32 v106, v47, v106                              // 000000005860: 0AD4D52F
	v_mul_f32_e32 v107, v47, v107                              // 000000005864: 0AD6D72F
	v_add_f32_e32 v112, v112, v104                             // 000000005868: 02E0D170
	v_add_f32_e32 v113, v113, v105                             // 00000000586C: 02E2D371
	v_add_f32_e32 v114, v114, v106                             // 000000005870: 02E4D572
	v_add_f32_e32 v115, v115, v107                             // 000000005874: 02E6D773
	ds_write_b32 v11, v42 offset:4224                          // 000000005878: D81A1080 00002A0B
	s_waitcnt lgkmcnt(0)                                       // 000000005880: BF8CC07F
	s_barrier                                                  // 000000005884: BF8A0000
	ds_read_b32 v64, v10 offset:4224                           // 000000005888: D86C1080 4000000A
	ds_read_b32 v65, v10 offset:4288                           // 000000005890: D86C10C0 4100000A
	ds_read_b32 v66, v10 offset:4352                           // 000000005898: D86C1100 4200000A
	ds_read_b32 v67, v10 offset:4416                           // 0000000058A0: D86C1140 4300000A
	ds_read_b32 v68, v10 offset:4480                           // 0000000058A8: D86C1180 4400000A
	ds_read_b32 v69, v10 offset:4544                           // 0000000058B0: D86C11C0 4500000A
	ds_read_b32 v70, v10 offset:4608                           // 0000000058B8: D86C1200 4600000A
	ds_read_b32 v71, v10 offset:4672                           // 0000000058C0: D86C1240 4700000A
	ds_read_b32 v72, v10 offset:4736                           // 0000000058C8: D86C1280 4800000A
	ds_read_b32 v73, v10 offset:4800                           // 0000000058D0: D86C12C0 4900000A
	ds_read_b32 v74, v10 offset:4864                           // 0000000058D8: D86C1300 4A00000A
	ds_read_b32 v75, v10 offset:4928                           // 0000000058E0: D86C1340 4B00000A
	ds_read_b32 v76, v10 offset:4992                           // 0000000058E8: D86C1380 4C00000A
	ds_read_b32 v77, v10 offset:5056                           // 0000000058F0: D86C13C0 4D00000A
	ds_read_b32 v78, v10 offset:5120                           // 0000000058F8: D86C1400 4E00000A
	ds_read_b32 v79, v10 offset:5184                           // 000000005900: D86C1440 4F00000A
	s_waitcnt lgkmcnt(0)                                       // 000000005908: BF8CC07F
	v_mov_b32_e32 v42, 0                                       // 00000000590C: 7E540280
	v_add_f32_e32 v42, v64, v42                                // 000000005910: 02545540
	v_add_f32_e32 v42, v65, v42                                // 000000005914: 02545541
	;; [unrolled: 1-line block ×3, first 2 shown]
	v_add_f32_e32 v42, v67, v42                                // 00000000591C: 02545543
	v_add_f32_e32 v42, v68, v42                                // 000000005920: 02545544
	v_add_f32_e32 v42, v69, v42                                // 000000005924: 02545545
	;; [unrolled: 1-line block ×3, first 2 shown]
	v_add_f32_e32 v42, v71, v42                                // 00000000592C: 02545547
	v_add_f32_e32 v42, v72, v42                                // 000000005930: 02545548
	v_add_f32_e32 v42, v73, v42                                // 000000005934: 02545549
	v_add_f32_e32 v42, v74, v42                                // 000000005938: 0254554A
	v_add_f32_e32 v42, v75, v42                                // 00000000593C: 0254554B
	v_add_f32_e32 v42, v76, v42                                // 000000005940: 0254554C
	v_add_f32_e32 v42, v77, v42                                // 000000005944: 0254554D
	v_add_f32_e32 v42, v78, v42                                // 000000005948: 0254554E
	v_add_f32_e32 v42, v79, v42                                // 00000000594C: 0254554F
	s_nop 1                                                    // 000000005950: BF800001
	v_mov_b32_dpp v38, v42 row_ror:8 row_mask:0xf bank_mask:0xf// 000000005954: 7E4C02FA FF01282A
	v_add_f32_e32 v42, v42, v38                                // 00000000595C: 02544D2A
	v_rcp_f32_e32 v42, v42                                     // 000000005960: 7E54452A
	s_nop 1                                                    // 000000005964: BF800001
	v_mul_f32_e32 v112, v42, v112                              // 000000005968: 0AE0E12A
	v_mul_f32_e32 v113, v42, v113                              // 00000000596C: 0AE2E32A
	v_mul_f32_e32 v114, v42, v114                              // 000000005970: 0AE4E52A
	v_mul_f32_e32 v115, v42, v115                              // 000000005974: 0AE6E72A
	v_cvt_pkrtz_f16_f32 v38, v112, v113                        // 000000005978: D2960026 0002E370
	v_mov_b32_e32 v112, v38                                    // 000000005980: 7EE00326
	v_cvt_pkrtz_f16_f32 v38, v114, v115                        // 000000005984: D2960026 0002E772
	v_mov_b32_e32 v113, v38                                    // 00000000598C: 7EE20326
	s_nop 1                                                    // 000000005990: BF800001
	v_mov_b32_dpp v114, v112 row_shl:8 row_mask:0xf bank_mask:0xf bound_ctrl:1// 000000005994: 7EE402FA FF090870
	v_and_b32_e32 v112, v112, v9                               // 00000000599C: 26E01370
	v_mov_b32_dpp v115, v113 row_shl:8 row_mask:0xf bank_mask:0xf bound_ctrl:1// 0000000059A0: 7EE602FA FF090871
	v_and_b32_e32 v113, v113, v9                               // 0000000059A8: 26E21371
	v_lshrrev_b32_e32 v38, 4, v0                               // 0000000059AC: 204C0084
	v_mul_i32_i24_e32 v5, 34, v38                              // 0000000059B0: 0C0A4CA2
	v_and_b32_e32 v38, 15, v0                                  // 0000000059B4: 264C008F
	v_mul_i32_i24_e32 v39, 2, v38                              // 0000000059B8: 0C4E4C82
	v_add_u32_e32 v5, v39, v5                                  // 0000000059BC: 680A0B27
	s_mul_i32 s60, s7, 0x88                                    // 0000000059C0: 923CFF07 00000088
	v_add_u32_e32 v5, s60, v5                                  // 0000000059C8: 680A0A3C
	v_lshlrev_b32_e32 v5, 2, v5                                // 0000000059CC: 240A0A82
	ds_write_b64 v5, v[112:113] offset:10368                   // 0000000059D0: D89A2880 00007005
	ds_write_b64 v5, v[114:115] offset:12544                   // 0000000059D8: D89A3100 00007205
	v_lshrrev_b32_e32 v38, 1, v0                               // 0000000059E0: 204C0081
	v_mul_i32_i24_e32 v5, 34, v38                              // 0000000059E4: 0C0A4CA2
	v_and_b32_e32 v39, 1, v0                                   // 0000000059E8: 264E0081
	v_add_u32_e32 v5, v39, v5                                  // 0000000059EC: 680A0B27
	s_mul_i32 s60, s7, 2                                       // 0000000059F0: 923C8207
	v_add_u32_e32 v5, s60, v5                                  // 0000000059F4: 680A0A3C
	v_lshlrev_b32_e32 v5, 2, v5                                // 0000000059F8: 240A0A82
	s_waitcnt lgkmcnt(0)                                       // 0000000059FC: BF8CC07F
	s_barrier                                                  // 000000005A00: BF8A0000
	ds_read_b32 v112, v5 offset:10368                          // 000000005A04: D86C2880 70000005
	ds_read_b32 v113, v5 offset:10400                          // 000000005A0C: D86C28A0 71000005
	s_waitcnt lgkmcnt(0)                                       // 000000005A14: BF8CC07F
	buffer_store_dword v112, v8, s[8:11], 0 offen              // 000000005A18: E0701000 80027008
	buffer_store_dword v113, v8, s[8:11], 0 offen offset:1024  // 000000005A20: E0701400 80027108
	s_waitcnt vmcnt(0) expcnt(0) lgkmcnt(0)                    // 000000005A28: BF8C0000
	s_endpgm                                                   // 000000005A2C: BF810000
